;; amdgpu-corpus repo=ROCm/rocFFT kind=compiled arch=gfx906 opt=O3
	.text
	.amdgcn_target "amdgcn-amd-amdhsa--gfx906"
	.amdhsa_code_object_version 6
	.protected	fft_rtc_fwd_len3456_factors_6_6_6_4_4_wgs_144_tpt_144_halfLds_dp_op_CI_CI_sbrr_dirReg ; -- Begin function fft_rtc_fwd_len3456_factors_6_6_6_4_4_wgs_144_tpt_144_halfLds_dp_op_CI_CI_sbrr_dirReg
	.globl	fft_rtc_fwd_len3456_factors_6_6_6_4_4_wgs_144_tpt_144_halfLds_dp_op_CI_CI_sbrr_dirReg
	.p2align	8
	.type	fft_rtc_fwd_len3456_factors_6_6_6_4_4_wgs_144_tpt_144_halfLds_dp_op_CI_CI_sbrr_dirReg,@function
fft_rtc_fwd_len3456_factors_6_6_6_4_4_wgs_144_tpt_144_halfLds_dp_op_CI_CI_sbrr_dirReg: ; @fft_rtc_fwd_len3456_factors_6_6_6_4_4_wgs_144_tpt_144_halfLds_dp_op_CI_CI_sbrr_dirReg
; %bb.0:
	s_load_dwordx4 s[16:19], s[4:5], 0x18
	s_load_dwordx4 s[12:15], s[4:5], 0x0
	;; [unrolled: 1-line block ×3, first 2 shown]
	v_mul_u32_u24_e32 v1, 0x1c8, v0
	v_add_u32_sdwa v6, s6, v1 dst_sel:DWORD dst_unused:UNUSED_PAD src0_sel:DWORD src1_sel:WORD_1
	s_waitcnt lgkmcnt(0)
	s_load_dwordx2 s[20:21], s[16:17], 0x0
	s_load_dwordx2 s[2:3], s[18:19], 0x0
	v_cmp_lt_u64_e64 s[0:1], s[14:15], 2
	v_mov_b32_e32 v1, 0
	v_mov_b32_e32 v4, 0
	;; [unrolled: 1-line block ×3, first 2 shown]
	s_and_b64 vcc, exec, s[0:1]
	v_mov_b32_e32 v5, 0
	s_cbranch_vccnz .LBB0_8
; %bb.1:
	s_load_dwordx2 s[0:1], s[4:5], 0x10
	s_add_u32 s6, s18, 8
	s_addc_u32 s7, s19, 0
	s_add_u32 s22, s16, 8
	v_mov_b32_e32 v4, 0
	s_addc_u32 s23, s17, 0
	v_mov_b32_e32 v5, 0
	s_waitcnt lgkmcnt(0)
	s_add_u32 s24, s0, 8
	v_mov_b32_e32 v97, v5
	s_addc_u32 s25, s1, 0
	s_mov_b64 s[26:27], 1
	v_mov_b32_e32 v96, v4
.LBB0_2:                                ; =>This Inner Loop Header: Depth=1
	s_load_dwordx2 s[28:29], s[24:25], 0x0
                                        ; implicit-def: $vgpr98_vgpr99
	s_waitcnt lgkmcnt(0)
	v_or_b32_e32 v2, s29, v7
	v_cmp_ne_u64_e32 vcc, 0, v[1:2]
	s_and_saveexec_b64 s[0:1], vcc
	s_xor_b64 s[30:31], exec, s[0:1]
	s_cbranch_execz .LBB0_4
; %bb.3:                                ;   in Loop: Header=BB0_2 Depth=1
	v_cvt_f32_u32_e32 v2, s28
	v_cvt_f32_u32_e32 v3, s29
	s_sub_u32 s0, 0, s28
	s_subb_u32 s1, 0, s29
	v_mac_f32_e32 v2, 0x4f800000, v3
	v_rcp_f32_e32 v2, v2
	v_mul_f32_e32 v2, 0x5f7ffffc, v2
	v_mul_f32_e32 v3, 0x2f800000, v2
	v_trunc_f32_e32 v3, v3
	v_mac_f32_e32 v2, 0xcf800000, v3
	v_cvt_u32_f32_e32 v3, v3
	v_cvt_u32_f32_e32 v2, v2
	v_mul_lo_u32 v8, s0, v3
	v_mul_hi_u32 v9, s0, v2
	v_mul_lo_u32 v11, s1, v2
	v_mul_lo_u32 v10, s0, v2
	v_add_u32_e32 v8, v9, v8
	v_add_u32_e32 v8, v8, v11
	v_mul_hi_u32 v9, v2, v10
	v_mul_lo_u32 v11, v2, v8
	v_mul_hi_u32 v13, v2, v8
	v_mul_hi_u32 v12, v3, v10
	v_mul_lo_u32 v10, v3, v10
	v_mul_hi_u32 v14, v3, v8
	v_add_co_u32_e32 v9, vcc, v9, v11
	v_addc_co_u32_e32 v11, vcc, 0, v13, vcc
	v_mul_lo_u32 v8, v3, v8
	v_add_co_u32_e32 v9, vcc, v9, v10
	v_addc_co_u32_e32 v9, vcc, v11, v12, vcc
	v_addc_co_u32_e32 v10, vcc, 0, v14, vcc
	v_add_co_u32_e32 v8, vcc, v9, v8
	v_addc_co_u32_e32 v9, vcc, 0, v10, vcc
	v_add_co_u32_e32 v2, vcc, v2, v8
	v_addc_co_u32_e32 v3, vcc, v3, v9, vcc
	v_mul_lo_u32 v8, s0, v3
	v_mul_hi_u32 v9, s0, v2
	v_mul_lo_u32 v10, s1, v2
	v_mul_lo_u32 v11, s0, v2
	v_add_u32_e32 v8, v9, v8
	v_add_u32_e32 v8, v8, v10
	v_mul_lo_u32 v12, v2, v8
	v_mul_hi_u32 v13, v2, v11
	v_mul_hi_u32 v14, v2, v8
	;; [unrolled: 1-line block ×3, first 2 shown]
	v_mul_lo_u32 v11, v3, v11
	v_mul_hi_u32 v9, v3, v8
	v_add_co_u32_e32 v12, vcc, v13, v12
	v_addc_co_u32_e32 v13, vcc, 0, v14, vcc
	v_mul_lo_u32 v8, v3, v8
	v_add_co_u32_e32 v11, vcc, v12, v11
	v_addc_co_u32_e32 v10, vcc, v13, v10, vcc
	v_addc_co_u32_e32 v9, vcc, 0, v9, vcc
	v_add_co_u32_e32 v8, vcc, v10, v8
	v_addc_co_u32_e32 v9, vcc, 0, v9, vcc
	v_add_co_u32_e32 v8, vcc, v2, v8
	v_addc_co_u32_e32 v9, vcc, v3, v9, vcc
	v_mad_u64_u32 v[2:3], s[0:1], v6, v9, 0
	v_mul_hi_u32 v10, v6, v8
	v_add_co_u32_e32 v10, vcc, v10, v2
	v_addc_co_u32_e32 v11, vcc, 0, v3, vcc
	v_mad_u64_u32 v[2:3], s[0:1], v7, v8, 0
	v_mad_u64_u32 v[8:9], s[0:1], v7, v9, 0
	v_add_co_u32_e32 v2, vcc, v10, v2
	v_addc_co_u32_e32 v2, vcc, v11, v3, vcc
	v_addc_co_u32_e32 v3, vcc, 0, v9, vcc
	v_add_co_u32_e32 v8, vcc, v2, v8
	v_addc_co_u32_e32 v9, vcc, 0, v3, vcc
	v_mul_lo_u32 v10, s29, v8
	v_mul_lo_u32 v11, s28, v9
	v_mad_u64_u32 v[2:3], s[0:1], s28, v8, 0
	v_add3_u32 v3, v3, v11, v10
	v_sub_u32_e32 v10, v7, v3
	v_mov_b32_e32 v11, s29
	v_sub_co_u32_e32 v2, vcc, v6, v2
	v_subb_co_u32_e64 v10, s[0:1], v10, v11, vcc
	v_subrev_co_u32_e64 v11, s[0:1], s28, v2
	v_subbrev_co_u32_e64 v10, s[0:1], 0, v10, s[0:1]
	v_cmp_le_u32_e64 s[0:1], s29, v10
	v_cndmask_b32_e64 v12, 0, -1, s[0:1]
	v_cmp_le_u32_e64 s[0:1], s28, v11
	v_cndmask_b32_e64 v11, 0, -1, s[0:1]
	v_cmp_eq_u32_e64 s[0:1], s29, v10
	v_cndmask_b32_e64 v10, v12, v11, s[0:1]
	v_add_co_u32_e64 v11, s[0:1], 2, v8
	v_addc_co_u32_e64 v12, s[0:1], 0, v9, s[0:1]
	v_add_co_u32_e64 v13, s[0:1], 1, v8
	v_addc_co_u32_e64 v14, s[0:1], 0, v9, s[0:1]
	v_subb_co_u32_e32 v3, vcc, v7, v3, vcc
	v_cmp_ne_u32_e64 s[0:1], 0, v10
	v_cmp_le_u32_e32 vcc, s29, v3
	v_cndmask_b32_e64 v10, v14, v12, s[0:1]
	v_cndmask_b32_e64 v12, 0, -1, vcc
	v_cmp_le_u32_e32 vcc, s28, v2
	v_cndmask_b32_e64 v2, 0, -1, vcc
	v_cmp_eq_u32_e32 vcc, s29, v3
	v_cndmask_b32_e32 v2, v12, v2, vcc
	v_cmp_ne_u32_e32 vcc, 0, v2
	v_cndmask_b32_e64 v2, v13, v11, s[0:1]
	v_cndmask_b32_e32 v99, v9, v10, vcc
	v_cndmask_b32_e32 v98, v8, v2, vcc
.LBB0_4:                                ;   in Loop: Header=BB0_2 Depth=1
	s_andn2_saveexec_b64 s[0:1], s[30:31]
	s_cbranch_execz .LBB0_6
; %bb.5:                                ;   in Loop: Header=BB0_2 Depth=1
	v_cvt_f32_u32_e32 v2, s28
	s_sub_i32 s30, 0, s28
	v_mov_b32_e32 v99, v1
	v_rcp_iflag_f32_e32 v2, v2
	v_mul_f32_e32 v2, 0x4f7ffffe, v2
	v_cvt_u32_f32_e32 v2, v2
	v_mul_lo_u32 v3, s30, v2
	v_mul_hi_u32 v3, v2, v3
	v_add_u32_e32 v2, v2, v3
	v_mul_hi_u32 v2, v6, v2
	v_mul_lo_u32 v3, v2, s28
	v_add_u32_e32 v8, 1, v2
	v_sub_u32_e32 v3, v6, v3
	v_subrev_u32_e32 v9, s28, v3
	v_cmp_le_u32_e32 vcc, s28, v3
	v_cndmask_b32_e32 v3, v3, v9, vcc
	v_cndmask_b32_e32 v2, v2, v8, vcc
	v_add_u32_e32 v8, 1, v2
	v_cmp_le_u32_e32 vcc, s28, v3
	v_cndmask_b32_e32 v98, v2, v8, vcc
.LBB0_6:                                ;   in Loop: Header=BB0_2 Depth=1
	s_or_b64 exec, exec, s[0:1]
	v_mul_lo_u32 v8, v99, s28
	v_mul_lo_u32 v9, v98, s29
	v_mad_u64_u32 v[2:3], s[0:1], v98, s28, 0
	s_load_dwordx2 s[0:1], s[22:23], 0x0
	s_load_dwordx2 s[28:29], s[6:7], 0x0
	v_add3_u32 v3, v3, v9, v8
	v_sub_co_u32_e32 v2, vcc, v6, v2
	v_subb_co_u32_e32 v3, vcc, v7, v3, vcc
	s_waitcnt lgkmcnt(0)
	v_mul_lo_u32 v6, s0, v3
	v_mul_lo_u32 v7, s1, v2
	v_mad_u64_u32 v[4:5], s[0:1], s0, v2, v[4:5]
	v_mul_lo_u32 v3, s28, v3
	v_mul_lo_u32 v8, s29, v2
	v_mad_u64_u32 v[96:97], s[0:1], s28, v2, v[96:97]
	s_add_u32 s26, s26, 1
	s_addc_u32 s27, s27, 0
	s_add_u32 s6, s6, 8
	v_add3_u32 v97, v8, v97, v3
	s_addc_u32 s7, s7, 0
	v_mov_b32_e32 v2, s14
	s_add_u32 s22, s22, 8
	v_mov_b32_e32 v3, s15
	s_addc_u32 s23, s23, 0
	v_cmp_ge_u64_e32 vcc, s[26:27], v[2:3]
	s_add_u32 s24, s24, 8
	v_add3_u32 v5, v7, v5, v6
	s_addc_u32 s25, s25, 0
	s_cbranch_vccnz .LBB0_9
; %bb.7:                                ;   in Loop: Header=BB0_2 Depth=1
	v_mov_b32_e32 v6, v98
	v_mov_b32_e32 v7, v99
	s_branch .LBB0_2
.LBB0_8:
	v_mov_b32_e32 v97, v5
	v_mov_b32_e32 v99, v7
	;; [unrolled: 1-line block ×4, first 2 shown]
.LBB0_9:
	s_load_dwordx2 s[0:1], s[4:5], 0x28
	s_lshl_b64 s[14:15], s[14:15], 3
	s_add_u32 s4, s18, s14
	s_addc_u32 s5, s19, s15
                                        ; implicit-def: $vgpr100
                                        ; implicit-def: $vgpr101
                                        ; implicit-def: $vgpr102
                                        ; implicit-def: $vgpr105
                                        ; implicit-def: $vgpr103
                                        ; implicit-def: $vgpr104
	s_waitcnt lgkmcnt(0)
	v_cmp_gt_u64_e32 vcc, s[0:1], v[98:99]
	v_cmp_le_u64_e64 s[0:1], s[0:1], v[98:99]
	s_and_saveexec_b64 s[6:7], s[0:1]
	s_xor_b64 s[0:1], exec, s[6:7]
; %bb.10:
	s_mov_b32 s6, 0x1c71c72
	v_mul_hi_u32 v1, v0, s6
                                        ; implicit-def: $vgpr4_vgpr5
	v_mul_u32_u24_e32 v1, 0x90, v1
	v_sub_u32_e32 v100, v0, v1
	v_add_u32_e32 v101, 0x90, v100
	v_add_u32_e32 v102, 0x120, v100
	;; [unrolled: 1-line block ×5, first 2 shown]
                                        ; implicit-def: $vgpr0
; %bb.11:
	s_or_saveexec_b64 s[6:7], s[0:1]
                                        ; implicit-def: $vgpr78_vgpr79
                                        ; implicit-def: $vgpr90_vgpr91
                                        ; implicit-def: $vgpr74_vgpr75
                                        ; implicit-def: $vgpr58_vgpr59
                                        ; implicit-def: $vgpr62_vgpr63
                                        ; implicit-def: $vgpr54_vgpr55
                                        ; implicit-def: $vgpr30_vgpr31
                                        ; implicit-def: $vgpr34_vgpr35
                                        ; implicit-def: $vgpr26_vgpr27
                                        ; implicit-def: $vgpr22_vgpr23
                                        ; implicit-def: $vgpr6_vgpr7
                                        ; implicit-def: $vgpr18_vgpr19
                                        ; implicit-def: $vgpr2_vgpr3
                                        ; implicit-def: $vgpr14_vgpr15
                                        ; implicit-def: $vgpr10_vgpr11
                                        ; implicit-def: $vgpr42_vgpr43
                                        ; implicit-def: $vgpr38_vgpr39
                                        ; implicit-def: $vgpr46_vgpr47
                                        ; implicit-def: $vgpr50_vgpr51
                                        ; implicit-def: $vgpr66_vgpr67
                                        ; implicit-def: $vgpr70_vgpr71
                                        ; implicit-def: $vgpr94_vgpr95
                                        ; implicit-def: $vgpr82_vgpr83
                                        ; implicit-def: $vgpr86_vgpr87
	s_xor_b64 exec, exec, s[6:7]
	s_cbranch_execz .LBB0_13
; %bb.12:
	s_add_u32 s0, s16, s14
	s_mov_b32 s14, 0x1c71c72
	s_addc_u32 s1, s17, s15
	v_mul_hi_u32 v1, v0, s14
	s_load_dwordx2 s[0:1], s[0:1], 0x0
	v_mul_u32_u24_e32 v1, 0x90, v1
	v_sub_u32_e32 v100, v0, v1
	s_waitcnt lgkmcnt(0)
	v_mul_lo_u32 v8, s1, v98
	v_mad_u64_u32 v[0:1], s[14:15], s20, v100, 0
	v_mul_lo_u32 v9, s0, v99
	v_mad_u64_u32 v[2:3], s[0:1], s0, v98, 0
	v_add_u32_e32 v103, 0x240, v100
	v_add_u32_e32 v10, 0x480, v100
	v_mad_u64_u32 v[6:7], s[0:1], s21, v100, v[1:2]
	v_add3_u32 v3, v3, v9, v8
	v_lshlrev_b64 v[2:3], 4, v[2:3]
	v_mov_b32_e32 v1, v6
	v_mov_b32_e32 v6, s9
	v_add_co_u32_e64 v7, s[0:1], s8, v2
	v_addc_co_u32_e64 v8, s[0:1], v6, v3, s[0:1]
	v_lshlrev_b64 v[2:3], 4, v[4:5]
	v_mad_u64_u32 v[4:5], s[0:1], s20, v103, 0
	v_add_co_u32_e64 v6, s[0:1], v7, v2
	v_mov_b32_e32 v2, v5
	v_addc_co_u32_e64 v7, s[0:1], v8, v3, s[0:1]
	v_mad_u64_u32 v[2:3], s[0:1], s21, v103, v[2:3]
	v_mad_u64_u32 v[8:9], s[0:1], s20, v10, 0
	v_lshlrev_b64 v[0:1], 4, v[0:1]
	v_mov_b32_e32 v5, v2
	v_add_co_u32_e64 v0, s[0:1], v6, v0
	v_lshlrev_b64 v[2:3], 4, v[4:5]
	v_mov_b32_e32 v4, v9
	v_addc_co_u32_e64 v1, s[0:1], v7, v1, s[0:1]
	v_mad_u64_u32 v[4:5], s[0:1], s21, v10, v[4:5]
	v_add_u32_e32 v12, 0x6c0, v100
	v_mad_u64_u32 v[10:11], s[0:1], s20, v12, 0
	v_mov_b32_e32 v9, v4
	v_add_co_u32_e64 v2, s[0:1], v6, v2
	v_lshlrev_b64 v[4:5], 4, v[8:9]
	v_mov_b32_e32 v8, v11
	v_addc_co_u32_e64 v3, s[0:1], v7, v3, s[0:1]
	v_mad_u64_u32 v[8:9], s[0:1], s21, v12, v[8:9]
	v_or_b32_e32 v14, 0x900, v100
	v_mad_u64_u32 v[12:13], s[0:1], s20, v14, 0
	v_mov_b32_e32 v11, v8
	v_add_co_u32_e64 v4, s[0:1], v6, v4
	v_lshlrev_b64 v[8:9], 4, v[10:11]
	v_mov_b32_e32 v10, v13
	v_addc_co_u32_e64 v5, s[0:1], v7, v5, s[0:1]
	v_mad_u64_u32 v[10:11], s[0:1], s21, v14, v[10:11]
	v_add_u32_e32 v16, 0xb40, v100
	v_mad_u64_u32 v[14:15], s[0:1], s20, v16, 0
	v_mov_b32_e32 v13, v10
	v_add_co_u32_e64 v8, s[0:1], v6, v8
	v_lshlrev_b64 v[10:11], 4, v[12:13]
	v_mov_b32_e32 v12, v15
	v_addc_co_u32_e64 v9, s[0:1], v7, v9, s[0:1]
	v_mad_u64_u32 v[12:13], s[0:1], s21, v16, v[12:13]
	v_add_u32_e32 v101, 0x90, v100
	v_mad_u64_u32 v[16:17], s[0:1], s20, v101, 0
	v_mov_b32_e32 v15, v12
	v_add_co_u32_e64 v10, s[0:1], v6, v10
	v_lshlrev_b64 v[12:13], 4, v[14:15]
	v_mov_b32_e32 v14, v17
	v_addc_co_u32_e64 v11, s[0:1], v7, v11, s[0:1]
	v_mad_u64_u32 v[14:15], s[0:1], s21, v101, v[14:15]
	v_add_u32_e32 v104, 0x2d0, v100
	v_mad_u64_u32 v[18:19], s[0:1], s20, v104, 0
	v_mov_b32_e32 v17, v14
	v_add_co_u32_e64 v12, s[0:1], v6, v12
	v_lshlrev_b64 v[14:15], 4, v[16:17]
	v_mov_b32_e32 v16, v19
	v_addc_co_u32_e64 v13, s[0:1], v7, v13, s[0:1]
	v_mad_u64_u32 v[16:17], s[0:1], s21, v104, v[16:17]
	v_add_u32_e32 v22, 0x510, v100
	v_mad_u64_u32 v[20:21], s[0:1], s20, v22, 0
	v_mov_b32_e32 v19, v16
	v_add_co_u32_e64 v14, s[0:1], v6, v14
	v_lshlrev_b64 v[16:17], 4, v[18:19]
	v_mov_b32_e32 v18, v21
	v_addc_co_u32_e64 v15, s[0:1], v7, v15, s[0:1]
	v_mad_u64_u32 v[18:19], s[0:1], s21, v22, v[18:19]
	v_add_u32_e32 v24, 0x750, v100
	v_mad_u64_u32 v[22:23], s[0:1], s20, v24, 0
	v_mov_b32_e32 v21, v18
	v_add_co_u32_e64 v16, s[0:1], v6, v16
	v_lshlrev_b64 v[18:19], 4, v[20:21]
	v_mov_b32_e32 v20, v23
	v_addc_co_u32_e64 v17, s[0:1], v7, v17, s[0:1]
	v_mad_u64_u32 v[20:21], s[0:1], s21, v24, v[20:21]
	v_add_u32_e32 v26, 0x990, v100
	v_mad_u64_u32 v[24:25], s[0:1], s20, v26, 0
	v_mov_b32_e32 v23, v20
	v_add_co_u32_e64 v18, s[0:1], v6, v18
	v_lshlrev_b64 v[20:21], 4, v[22:23]
	v_mov_b32_e32 v22, v25
	v_addc_co_u32_e64 v19, s[0:1], v7, v19, s[0:1]
	v_mad_u64_u32 v[22:23], s[0:1], s21, v26, v[22:23]
	v_add_u32_e32 v28, 0xbd0, v100
	v_mad_u64_u32 v[26:27], s[0:1], s20, v28, 0
	v_mov_b32_e32 v25, v22
	v_add_co_u32_e64 v20, s[0:1], v6, v20
	v_lshlrev_b64 v[22:23], 4, v[24:25]
	v_mov_b32_e32 v24, v27
	v_addc_co_u32_e64 v21, s[0:1], v7, v21, s[0:1]
	v_mad_u64_u32 v[24:25], s[0:1], s21, v28, v[24:25]
	v_add_u32_e32 v102, 0x120, v100
	v_mad_u64_u32 v[28:29], s[0:1], s20, v102, 0
	v_mov_b32_e32 v27, v24
	v_add_co_u32_e64 v22, s[0:1], v6, v22
	v_lshlrev_b64 v[24:25], 4, v[26:27]
	v_mov_b32_e32 v26, v29
	v_addc_co_u32_e64 v23, s[0:1], v7, v23, s[0:1]
	v_mad_u64_u32 v[26:27], s[0:1], s21, v102, v[26:27]
	v_add_u32_e32 v32, 0x360, v100
	v_mad_u64_u32 v[30:31], s[0:1], s20, v32, 0
	v_mov_b32_e32 v29, v26
	v_add_co_u32_e64 v24, s[0:1], v6, v24
	v_lshlrev_b64 v[26:27], 4, v[28:29]
	v_mov_b32_e32 v28, v31
	v_addc_co_u32_e64 v25, s[0:1], v7, v25, s[0:1]
	v_mad_u64_u32 v[28:29], s[0:1], s21, v32, v[28:29]
	v_add_u32_e32 v34, 0x5a0, v100
	v_mad_u64_u32 v[32:33], s[0:1], s20, v34, 0
	v_mov_b32_e32 v31, v28
	v_add_co_u32_e64 v26, s[0:1], v6, v26
	v_lshlrev_b64 v[28:29], 4, v[30:31]
	v_mov_b32_e32 v30, v33
	v_addc_co_u32_e64 v27, s[0:1], v7, v27, s[0:1]
	v_mad_u64_u32 v[30:31], s[0:1], s21, v34, v[30:31]
	v_add_u32_e32 v31, 0x7e0, v100
	v_mad_u64_u32 v[34:35], s[0:1], s20, v31, 0
	v_add_co_u32_e64 v36, s[0:1], v6, v28
	v_mov_b32_e32 v33, v30
	v_mov_b32_e32 v30, v35
	v_addc_co_u32_e64 v37, s[0:1], v7, v29, s[0:1]
	v_lshlrev_b64 v[28:29], 4, v[32:33]
	v_mad_u64_u32 v[30:31], s[0:1], s21, v31, v[30:31]
	v_add_u32_e32 v33, 0xa20, v100
	v_mad_u64_u32 v[31:32], s[0:1], s20, v33, 0
	v_add_co_u32_e64 v38, s[0:1], v6, v28
	v_mov_b32_e32 v35, v30
	v_mov_b32_e32 v30, v32
	v_addc_co_u32_e64 v39, s[0:1], v7, v29, s[0:1]
	v_lshlrev_b64 v[28:29], 4, v[34:35]
	v_mad_u64_u32 v[32:33], s[0:1], s21, v33, v[30:31]
	v_add_u32_e32 v35, 0xc60, v100
	v_mad_u64_u32 v[33:34], s[0:1], s20, v35, 0
	v_add_co_u32_e64 v106, s[0:1], v6, v28
	v_mov_b32_e32 v30, v34
	v_addc_co_u32_e64 v107, s[0:1], v7, v29, s[0:1]
	v_lshlrev_b64 v[28:29], 4, v[31:32]
	v_mad_u64_u32 v[30:31], s[0:1], s21, v35, v[30:31]
	v_add_u32_e32 v105, 0x1b0, v100
	v_mad_u64_u32 v[31:32], s[0:1], s20, v105, 0
	v_add_co_u32_e64 v108, s[0:1], v6, v28
	v_mov_b32_e32 v34, v30
	v_mov_b32_e32 v30, v32
	v_addc_co_u32_e64 v109, s[0:1], v7, v29, s[0:1]
	v_lshlrev_b64 v[28:29], 4, v[33:34]
	v_mad_u64_u32 v[32:33], s[0:1], s21, v105, v[30:31]
	v_add_u32_e32 v35, 0x3f0, v100
	v_mad_u64_u32 v[33:34], s[0:1], s20, v35, 0
	v_add_co_u32_e64 v110, s[0:1], v6, v28
	;; [unrolled: 15-line block ×4, first 2 shown]
	v_mov_b32_e32 v30, v34
	v_addc_co_u32_e64 v119, s[0:1], v7, v29, s[0:1]
	v_lshlrev_b64 v[28:29], 4, v[31:32]
	v_mad_u64_u32 v[30:31], s[0:1], s21, v35, v[30:31]
	v_add_co_u32_e64 v120, s[0:1], v6, v28
	v_mov_b32_e32 v34, v30
	v_addc_co_u32_e64 v121, s[0:1], v7, v29, s[0:1]
	v_lshlrev_b64 v[28:29], 4, v[33:34]
	v_add_co_u32_e64 v122, s[0:1], v6, v28
	v_addc_co_u32_e64 v123, s[0:1], v7, v29, s[0:1]
	global_load_dwordx4 v[84:87], v[0:1], off
	global_load_dwordx4 v[76:79], v[2:3], off
	;; [unrolled: 1-line block ×15, first 2 shown]
                                        ; kill: killed $vgpr38 killed $vgpr39
                                        ; kill: killed $vgpr24 killed $vgpr25
                                        ; kill: killed $vgpr2 killed $vgpr3
                                        ; kill: killed $vgpr4 killed $vgpr5
                                        ; kill: killed $vgpr8 killed $vgpr9
                                        ; kill: killed $vgpr0 killed $vgpr1
                                        ; kill: killed $vgpr10 killed $vgpr11
                                        ; kill: killed $vgpr16 killed $vgpr17
                                        ; kill: killed $vgpr12 killed $vgpr13
                                        ; kill: killed $vgpr18 killed $vgpr19
                                        ; kill: killed $vgpr26 killed $vgpr27
                                        ; kill: killed $vgpr20 killed $vgpr21
                                        ; kill: killed $vgpr14 killed $vgpr15
                                        ; kill: killed $vgpr36 killed $vgpr37
                                        ; kill: killed $vgpr22 killed $vgpr23
	s_nop 0
	global_load_dwordx4 v[36:39], v[106:107], off
	global_load_dwordx4 v[40:43], v[108:109], off
	;; [unrolled: 1-line block ×9, first 2 shown]
.LBB0_13:
	s_or_b64 exec, exec, s[6:7]
	s_waitcnt vmcnt(18)
	v_add_f64 v[108:109], v[72:73], v[80:81]
	v_add_f64 v[106:107], v[88:89], v[92:93]
	;; [unrolled: 1-line block ×4, first 2 shown]
	v_add_f64 v[118:119], v[82:83], -v[74:75]
	s_mov_b32 s6, 0xe8584caa
	s_mov_b32 s7, 0x3febb67a
	;; [unrolled: 1-line block ×3, first 2 shown]
	v_fma_f64 v[108:109], v[108:109], -0.5, v[76:77]
	s_mov_b32 s0, s6
	v_add_f64 v[112:113], v[90:91], -v[94:95]
	v_add_f64 v[114:115], v[90:91], v[86:87]
	v_add_f64 v[90:91], v[90:91], v[94:95]
	v_add_f64 v[88:89], v[88:89], -v[92:93]
	v_fma_f64 v[84:85], v[106:107], -0.5, v[84:85]
	v_add_f64 v[92:93], v[92:93], v[110:111]
	v_add_f64 v[106:107], v[80:81], -v[72:73]
	v_fma_f64 v[110:111], v[116:117], -0.5, v[78:79]
	v_fma_f64 v[116:117], v[118:119], s[6:7], v[108:109]
	v_fma_f64 v[108:109], v[118:119], s[0:1], v[108:109]
	v_add_f64 v[76:77], v[76:77], v[80:81]
	v_fma_f64 v[86:87], v[90:91], -0.5, v[86:87]
	v_add_f64 v[94:95], v[94:95], v[114:115]
	v_fma_f64 v[114:115], v[112:113], s[6:7], v[84:85]
	v_fma_f64 v[84:85], v[112:113], s[0:1], v[84:85]
	;; [unrolled: 1-line block ×4, first 2 shown]
	v_mul_f64 v[106:107], v[116:117], 0.5
	v_mul_f64 v[90:91], v[108:109], -0.5
	v_add_f64 v[78:79], v[78:79], v[82:83]
	v_mul_f64 v[82:83], v[116:117], s[0:1]
	v_add_f64 v[112:113], v[72:73], v[76:77]
	s_waitcnt vmcnt(12)
	v_add_f64 v[122:123], v[60:61], v[48:49]
	v_add_f64 v[124:125], v[62:63], v[50:51]
	v_mul_f64 v[110:111], v[118:119], -0.5
	v_fma_f64 v[106:107], v[80:81], s[6:7], v[106:107]
	v_fma_f64 v[90:91], v[118:119], s[6:7], v[90:91]
	;; [unrolled: 1-line block ×4, first 2 shown]
	v_add_f64 v[88:89], v[74:75], v[78:79]
	v_fma_f64 v[118:119], v[80:81], 0.5, v[82:83]
	v_add_f64 v[72:73], v[112:113], v[92:93]
	v_add_f64 v[78:79], v[92:93], -v[112:113]
	v_add_f64 v[74:75], v[114:115], v[106:107]
	v_add_f64 v[76:77], v[84:85], v[90:91]
	;; [unrolled: 1-line block ×3, first 2 shown]
	v_add_f64 v[80:81], v[114:115], -v[106:107]
	v_add_f64 v[82:83], v[84:85], -v[90:91]
	v_fma_f64 v[84:85], v[122:123], -0.5, v[68:69]
	v_add_f64 v[90:91], v[54:55], v[66:67]
	v_fma_f64 v[106:107], v[124:125], -0.5, v[70:71]
	v_add_f64 v[70:71], v[62:63], v[70:71]
	v_add_f64 v[62:63], v[62:63], -v[50:51]
	v_fma_f64 v[120:121], v[108:109], s[0:1], v[110:111]
	v_add_f64 v[109:110], v[88:89], v[94:95]
	v_add_f64 v[68:69], v[60:61], v[68:69]
	v_add_f64 v[113:114], v[60:61], -v[48:49]
	v_add_f64 v[122:123], v[56:57], v[64:65]
	v_add_f64 v[60:61], v[94:95], -v[88:89]
	v_fma_f64 v[56:57], v[92:93], -0.5, v[56:57]
	v_fma_f64 v[88:89], v[90:91], -0.5, v[58:59]
	v_add_f64 v[90:91], v[58:59], v[66:67]
	v_fma_f64 v[92:93], v[62:63], s[6:7], v[84:85]
	v_fma_f64 v[62:63], v[62:63], s[0:1], v[84:85]
	v_add_f64 v[66:67], v[66:67], -v[54:55]
	v_fma_f64 v[94:95], v[113:114], s[6:7], v[106:107]
	v_fma_f64 v[106:107], v[113:114], s[0:1], v[106:107]
	v_add_f64 v[111:112], v[116:117], v[118:119]
	v_add_f64 v[58:59], v[86:87], v[120:121]
	;; [unrolled: 1-line block ×3, first 2 shown]
	v_mul_f64 v[113:114], v[92:93], 0.5
	v_mul_f64 v[54:55], v[62:63], -0.5
	v_add_f64 v[84:85], v[52:53], v[122:123]
	v_add_f64 v[64:65], v[64:65], -v[52:53]
	v_add_f64 v[52:53], v[116:117], -v[118:119]
	v_fma_f64 v[115:116], v[66:67], s[6:7], v[56:57]
	v_mul_f64 v[92:93], v[92:93], s[0:1]
	v_fma_f64 v[56:57], v[66:67], s[0:1], v[56:57]
	v_mul_f64 v[66:67], v[94:95], -0.5
	v_add_f64 v[117:118], v[48:49], v[68:69]
	v_fma_f64 v[113:114], v[106:107], s[6:7], v[113:114]
	v_fma_f64 v[94:95], v[94:95], s[6:7], v[54:55]
	v_add_f64 v[70:71], v[50:51], v[70:71]
	v_add_f64 v[54:55], v[86:87], -v[120:121]
	s_waitcnt vmcnt(6)
	v_add_f64 v[119:120], v[24:25], v[36:37]
	v_fma_f64 v[122:123], v[64:65], s[0:1], v[88:89]
	v_fma_f64 v[92:93], v[106:107], 0.5, v[92:93]
	v_fma_f64 v[106:107], v[64:65], s[6:7], v[88:89]
	v_fma_f64 v[124:125], v[62:63], s[0:1], v[66:67]
	v_add_f64 v[48:49], v[84:85], v[117:118]
	v_add_f64 v[50:51], v[115:116], v[113:114]
	;; [unrolled: 1-line block ×4, first 2 shown]
	v_add_f64 v[64:65], v[84:85], -v[117:118]
	v_add_f64 v[85:86], v[115:116], -v[113:114]
	;; [unrolled: 1-line block ×4, first 2 shown]
	v_add_f64 v[56:57], v[26:27], v[38:39]
	v_fma_f64 v[70:71], v[119:120], -0.5, v[28:29]
	v_add_f64 v[89:90], v[34:35], v[42:43]
	v_add_f64 v[94:95], v[38:39], -v[26:27]
	v_add_f64 v[126:127], v[32:33], v[40:41]
	v_add_f64 v[68:69], v[122:123], v[92:93]
	;; [unrolled: 1-line block ×3, first 2 shown]
	v_add_f64 v[117:118], v[122:123], -v[92:93]
	v_add_f64 v[119:120], v[106:107], -v[124:125]
	v_add_f64 v[91:92], v[32:33], v[44:45]
	v_fma_f64 v[56:57], v[56:57], -0.5, v[30:31]
	v_add_f64 v[106:107], v[34:35], v[46:47]
	v_fma_f64 v[46:47], v[89:90], -0.5, v[46:47]
	v_add_f64 v[89:90], v[36:37], -v[24:25]
	v_fma_f64 v[121:122], v[94:95], s[6:7], v[70:71]
	v_fma_f64 v[44:45], v[126:127], -0.5, v[44:45]
	v_fma_f64 v[70:71], v[94:95], s[0:1], v[70:71]
	v_add_f64 v[34:35], v[34:35], -v[42:43]
	v_add_f64 v[28:29], v[28:29], v[36:37]
	v_add_f64 v[91:92], v[40:41], v[91:92]
	v_add_f64 v[32:33], v[32:33], -v[40:41]
	v_add_f64 v[36:37], v[42:43], v[106:107]
	v_fma_f64 v[40:41], v[89:90], s[0:1], v[56:57]
	v_mul_f64 v[42:43], v[121:122], 0.5
	v_fma_f64 v[56:57], v[89:90], s[6:7], v[56:57]
	v_fma_f64 v[89:90], v[34:35], s[6:7], v[44:45]
	v_mul_f64 v[93:94], v[70:71], -0.5
	v_fma_f64 v[34:35], v[34:35], s[0:1], v[44:45]
	v_add_f64 v[30:31], v[30:31], v[38:39]
	v_add_f64 v[44:45], v[24:25], v[28:29]
	v_fma_f64 v[38:39], v[32:33], s[0:1], v[46:47]
	v_fma_f64 v[42:43], v[40:41], s[6:7], v[42:43]
	;; [unrolled: 1-line block ×3, first 2 shown]
	v_mul_f64 v[28:29], v[121:122], s[0:1]
	v_mul_f64 v[32:33], v[56:57], -0.5
	s_waitcnt vmcnt(0)
	v_add_f64 v[121:122], v[4:5], v[0:1]
	v_fma_f64 v[93:94], v[56:57], s[6:7], v[93:94]
	v_add_f64 v[56:57], v[16:17], v[12:13]
	v_add_f64 v[106:107], v[26:27], v[30:31]
	;; [unrolled: 1-line block ×3, first 2 shown]
	v_add_f64 v[30:31], v[91:92], -v[44:45]
	v_add_f64 v[91:92], v[6:7], v[2:3]
	v_add_f64 v[26:27], v[89:90], v[42:43]
	v_fma_f64 v[70:71], v[70:71], s[0:1], v[32:33]
	v_add_f64 v[32:33], v[89:90], -v[42:43]
	v_add_f64 v[42:43], v[18:19], v[14:15]
	v_fma_f64 v[44:45], v[121:122], -0.5, v[8:9]
	v_add_f64 v[89:90], v[6:7], -v[2:3]
	v_fma_f64 v[56:57], v[56:57], -0.5, v[20:21]
	v_add_f64 v[20:21], v[20:21], v[12:13]
	v_fma_f64 v[91:92], v[91:92], -0.5, v[10:11]
	v_add_f64 v[125:126], v[4:5], -v[0:1]
	v_add_f64 v[123:124], v[14:15], -v[18:19]
	v_add_f64 v[14:15], v[22:23], v[14:15]
	v_fma_f64 v[22:23], v[42:43], -0.5, v[22:23]
	v_fma_f64 v[42:43], v[89:90], s[6:7], v[44:45]
	v_fma_f64 v[44:45], v[89:90], s[0:1], v[44:45]
	v_add_f64 v[20:21], v[16:17], v[20:21]
	v_add_f64 v[12:13], v[12:13], -v[16:17]
	v_fma_f64 v[16:17], v[125:126], s[6:7], v[91:92]
	v_add_f64 v[4:5], v[4:5], v[8:9]
	v_add_f64 v[14:15], v[18:19], v[14:15]
	v_fma_f64 v[18:19], v[125:126], s[0:1], v[91:92]
	v_mul_f64 v[8:9], v[42:43], 0.5
	v_add_f64 v[6:7], v[6:7], v[10:11]
	v_mul_f64 v[10:11], v[44:45], -0.5
	v_fma_f64 v[89:90], v[12:13], s[0:1], v[22:23]
	v_fma_f64 v[12:13], v[12:13], s[6:7], v[22:23]
	v_mul_f64 v[22:23], v[16:17], -0.5
	v_mul_f64 v[42:43], v[42:43], s[0:1]
	v_fma_f64 v[40:41], v[40:41], 0.5, v[28:29]
	v_add_f64 v[28:29], v[34:35], v[93:94]
	v_add_f64 v[34:35], v[34:35], -v[93:94]
	v_fma_f64 v[93:94], v[123:124], s[6:7], v[56:57]
	v_add_f64 v[121:122], v[106:107], v[36:37]
	v_add_f64 v[127:128], v[36:37], -v[106:107]
	v_add_f64 v[36:37], v[0:1], v[4:5]
	v_fma_f64 v[8:9], v[18:19], s[6:7], v[8:9]
	v_fma_f64 v[56:57], v[123:124], s[0:1], v[56:57]
	;; [unrolled: 1-line block ×4, first 2 shown]
	v_fma_f64 v[18:19], v[18:19], 0.5, v[42:43]
	v_add_f64 v[16:17], v[2:3], v[6:7]
	s_load_dwordx2 s[4:5], s[4:5], 0x0
	v_add_f64 v[0:1], v[20:21], v[36:37]
	v_add_f64 v[2:3], v[93:94], v[8:9]
	v_add_f64 v[6:7], v[20:21], -v[36:37]
	v_add_f64 v[4:5], v[56:57], v[10:11]
	v_add_f64 v[137:138], v[12:13], v[22:23]
	v_add_f64 v[143:144], v[12:13], -v[22:23]
	v_mul_u32_u24_e32 v12, 6, v100
	v_add_f64 v[8:9], v[93:94], -v[8:9]
	v_add_f64 v[10:11], v[56:57], -v[10:11]
	v_lshl_add_u32 v56, v12, 3, 0
	v_mul_i32_i24_e32 v12, 6, v101
	v_lshl_add_u32 v84, v12, 3, 0
	v_mul_i32_i24_e32 v12, 6, v102
	ds_write_b128 v56, v[72:75]
	ds_write_b128 v56, v[76:79] offset:16
	ds_write_b128 v56, v[80:83] offset:32
	ds_write_b128 v84, v[48:51]
	ds_write_b128 v84, v[62:65] offset:16
	ds_write_b128 v84, v[85:88] offset:32
	v_lshl_add_u32 v85, v12, 3, 0
	v_mul_i32_i24_e32 v12, 6, v105
	v_lshl_add_u32 v86, v12, 3, 0
	s_movk_i32 s8, 0xffd8
	v_add_f64 v[123:124], v[38:39], v[40:41]
	v_add_f64 v[135:136], v[89:90], v[18:19]
	v_add_f64 v[141:142], v[89:90], -v[18:19]
	v_mad_i32_i24 v87, v100, s8, v56
	v_mad_i32_i24 v89, v101, s8, v84
	;; [unrolled: 1-line block ×4, first 2 shown]
	s_mov_b32 s8, 0xaaab
	v_add_f64 v[125:126], v[46:47], v[70:71]
	v_add_u32_e32 v95, 0x1e00, v87
	v_add_u32_e32 v94, 0x3000, v87
	;; [unrolled: 1-line block ×8, first 2 shown]
	v_mul_u32_u24_sdwa v48, v101, s8 dst_sel:DWORD dst_unused:UNUSED_PAD src0_sel:WORD_0 src1_sel:DWORD
	v_add_f64 v[129:130], v[38:39], -v[40:41]
	v_add_f64 v[131:132], v[46:47], -v[70:71]
	v_add_f64 v[133:134], v[14:15], v[16:17]
	v_add_f64 v[139:140], v[14:15], -v[16:17]
	ds_write_b128 v85, v[24:27]
	ds_write_b128 v85, v[28:31] offset:16
	ds_write_b128 v85, v[32:35] offset:32
	ds_write_b128 v86, v[0:3]
	ds_write_b128 v86, v[4:7] offset:16
	ds_write_b128 v86, v[8:11] offset:32
	s_waitcnt lgkmcnt(0)
	s_barrier
	ds_read_b64 v[42:43], v87
	v_lshl_add_u32 v88, v103, 3, 0
	ds_read2_b64 v[12:15], v95 offset0:48 offset1:192
	ds_read2_b64 v[8:11], v94 offset0:48 offset1:192
	;; [unrolled: 1-line block ×8, first 2 shown]
	v_add_u32_e32 v106, 0x5c00, v87
	ds_read_b64 v[38:39], v90
	ds_read_b64 v[36:37], v91
	;; [unrolled: 1-line block ×4, first 2 shown]
	ds_read_b64 v[44:45], v87 offset:26496
	ds_read2_b64 v[20:23], v106 offset0:80 offset1:224
	s_waitcnt lgkmcnt(0)
	s_barrier
	ds_write_b128 v56, v[109:112]
	ds_write_b128 v56, v[58:61] offset:16
	ds_write_b128 v56, v[52:55] offset:32
	ds_write_b128 v84, v[66:69]
	ds_write_b128 v84, v[113:116] offset:16
	ds_write_b128 v84, v[117:120] offset:32
	;; [unrolled: 3-line block ×4, first 2 shown]
	v_lshrrev_b32_e32 v113, 18, v48
	v_mul_lo_u16_e32 v48, 6, v113
	v_sub_u16_e32 v114, v101, v48
	v_mul_u32_u24_e32 v48, 5, v114
	v_lshlrev_b32_e32 v64, 4, v48
	s_waitcnt lgkmcnt(0)
	s_barrier
	global_load_dwordx4 v[48:51], v64, s[12:13]
	v_mul_u32_u24_sdwa v52, v102, s8 dst_sel:DWORD dst_unused:UNUSED_PAD src0_sel:WORD_0 src1_sel:DWORD
	v_lshrrev_b32_e32 v112, 18, v52
	v_mul_lo_u16_e32 v52, 6, v112
	v_sub_u16_e32 v111, v102, v52
	v_mul_u32_u24_e32 v52, 5, v111
	v_lshlrev_b32_e32 v65, 4, v52
	global_load_dwordx4 v[52:55], v65, s[12:13]
	global_load_dwordx4 v[56:59], v64, s[12:13] offset:16
	global_load_dwordx4 v[60:63], v65, s[12:13] offset:16
	;; [unrolled: 1-line block ×7, first 2 shown]
	s_movk_i32 s9, 0xab
	global_load_dwordx4 v[125:128], v65, s[12:13] offset:64
	v_mul_lo_u16_sdwa v64, v100, s9 dst_sel:DWORD dst_unused:UNUSED_PAD src0_sel:BYTE_0 src1_sel:DWORD
	v_lshrrev_b16_e32 v109, 10, v64
	v_mul_lo_u16_e32 v64, 6, v109
	v_sub_u16_e32 v181, v100, v64
	v_mov_b32_e32 v110, 5
	v_mul_u32_u24_sdwa v64, v181, v110 dst_sel:DWORD dst_unused:UNUSED_PAD src0_sel:BYTE_0 src1_sel:DWORD
	v_lshlrev_b32_e32 v72, 4, v64
	global_load_dwordx4 v[129:132], v72, s[12:13] offset:16
	v_mul_u32_u24_sdwa v64, v105, s8 dst_sel:DWORD dst_unused:UNUSED_PAD src0_sel:WORD_0 src1_sel:DWORD
	v_lshrrev_b32_e32 v115, 18, v64
	v_mul_lo_u16_e32 v64, 6, v115
	v_sub_u16_e32 v116, v105, v64
	v_mul_u32_u24_e32 v64, 5, v116
	v_lshlrev_b32_e32 v169, 4, v64
	global_load_dwordx4 v[133:136], v169, s[12:13]
	global_load_dwordx4 v[137:140], v72, s[12:13] offset:32
	global_load_dwordx4 v[141:144], v169, s[12:13] offset:16
	;; [unrolled: 1-line block ×5, first 2 shown]
	global_load_dwordx4 v[157:160], v72, s[12:13]
	global_load_dwordx4 v[165:168], v169, s[12:13] offset:48
	ds_read2_b64 v[64:67], v83 offset0:80 offset1:224
	global_load_dwordx4 v[169:172], v169, s[12:13] offset:64
	ds_read2_b64 v[161:164], v82 offset0:16 offset1:160
	s_mov_b32 s8, 0xe38f
	s_waitcnt vmcnt(19) lgkmcnt(1)
	v_mul_f64 v[72:73], v[64:65], v[50:51]
	v_mul_f64 v[50:51], v[32:33], v[50:51]
	s_waitcnt vmcnt(18)
	v_mul_f64 v[173:174], v[66:67], v[54:55]
	v_mul_f64 v[54:55], v[34:35], v[54:55]
	s_waitcnt vmcnt(14)
	v_mul_f64 v[179:180], v[26:27], v[76:77]
	v_fma_f64 v[175:176], v[32:33], v[48:49], -v[72:73]
	v_fma_f64 v[50:51], v[64:65], v[48:49], v[50:51]
	s_waitcnt lgkmcnt(0)
	v_mul_f64 v[64:65], v[161:162], v[58:59]
	v_fma_f64 v[173:174], v[34:35], v[52:53], -v[173:174]
	ds_read2_b64 v[32:35], v108 offset0:80 offset1:224
	v_fma_f64 v[48:49], v[66:67], v[52:53], v[54:55]
	v_mul_f64 v[52:53], v[28:29], v[58:59]
	v_mul_f64 v[54:55], v[163:164], v[62:63]
	v_mul_f64 v[58:59], v[30:31], v[62:63]
	s_waitcnt lgkmcnt(0)
	v_mul_f64 v[177:178], v[34:35], v[76:77]
	v_fma_f64 v[66:67], v[28:29], v[56:57], -v[64:65]
	v_mul_f64 v[28:29], v[32:33], v[70:71]
	v_mul_f64 v[70:71], v[24:25], v[70:71]
	ds_read2_b64 v[62:65], v107 offset0:16 offset1:160
	v_fma_f64 v[72:73], v[161:162], v[56:57], v[52:53]
	v_fma_f64 v[52:53], v[30:31], v[60:61], -v[54:55]
	v_fma_f64 v[56:57], v[34:35], v[74:75], v[179:180]
	s_waitcnt vmcnt(13)
	v_mul_f64 v[34:35], v[16:17], v[80:81]
	s_waitcnt lgkmcnt(0)
	v_mul_f64 v[30:31], v[62:63], v[80:81]
	v_fma_f64 v[161:162], v[24:25], v[68:69], -v[28:29]
	v_fma_f64 v[76:77], v[32:33], v[68:69], v[70:71]
	v_fma_f64 v[32:33], v[26:27], v[74:75], -v[177:178]
	ds_read2_b64 v[24:27], v106 offset0:80 offset1:224
	s_waitcnt vmcnt(12)
	v_mul_f64 v[54:55], v[18:19], v[119:120]
	v_fma_f64 v[58:59], v[163:164], v[60:61], v[58:59]
	v_fma_f64 v[74:75], v[62:63], v[78:79], v[34:35]
	v_fma_f64 v[80:81], v[16:17], v[78:79], -v[30:31]
	v_mul_f64 v[16:17], v[64:65], v[119:120]
	s_waitcnt vmcnt(11) lgkmcnt(0)
	v_mul_f64 v[68:69], v[24:25], v[123:124]
	v_mul_f64 v[119:120], v[20:21], v[123:124]
	s_waitcnt vmcnt(10)
	v_mul_f64 v[123:124], v[26:27], v[127:128]
	v_mul_f64 v[127:128], v[22:23], v[127:128]
	ds_read2_b64 v[28:31], v95 offset0:48 offset1:192
	v_fma_f64 v[60:61], v[64:65], v[117:118], v[54:55]
	s_waitcnt vmcnt(8)
	v_mul_f64 v[64:65], v[12:13], v[135:136]
	v_fma_f64 v[70:71], v[18:19], v[117:118], -v[16:17]
	v_fma_f64 v[34:35], v[20:21], v[121:122], -v[68:69]
	ds_read2_b64 v[18:21], v94 offset0:48 offset1:192
	s_waitcnt lgkmcnt(1)
	v_mul_f64 v[16:17], v[30:31], v[131:132]
	v_fma_f64 v[54:55], v[26:27], v[125:126], v[127:128]
	v_mul_f64 v[26:27], v[14:15], v[131:132]
	v_mul_f64 v[62:63], v[28:29], v[135:136]
	s_waitcnt vmcnt(7) lgkmcnt(0)
	v_mul_f64 v[68:69], v[20:21], v[139:140]
	v_fma_f64 v[78:79], v[24:25], v[121:122], v[119:120]
	v_fma_f64 v[117:118], v[22:23], v[125:126], -v[123:124]
	s_waitcnt vmcnt(6)
	v_mul_f64 v[121:122], v[18:19], v[143:144]
	v_mul_f64 v[123:124], v[8:9], v[143:144]
	v_fma_f64 v[14:15], v[14:15], v[129:130], -v[16:17]
	v_mul_f64 v[119:120], v[10:11], v[139:140]
	ds_read2_b64 v[22:25], v92 offset0:48 offset1:192
	v_fma_f64 v[16:17], v[30:31], v[129:130], v[26:27]
	v_fma_f64 v[26:27], v[12:13], v[133:134], -v[62:63]
	v_fma_f64 v[62:63], v[28:29], v[133:134], v[64:65]
	v_fma_f64 v[28:29], v[10:11], v[137:138], -v[68:69]
	ds_read2_b64 v[10:13], v93 offset0:48 offset1:192
	s_waitcnt vmcnt(5) lgkmcnt(1)
	v_mul_f64 v[30:31], v[24:25], v[147:148]
	v_fma_f64 v[64:65], v[8:9], v[141:142], -v[121:122]
	v_fma_f64 v[68:69], v[18:19], v[141:142], v[123:124]
	s_waitcnt vmcnt(4)
	v_mul_f64 v[18:19], v[2:3], v[151:152]
	s_waitcnt lgkmcnt(0)
	v_mul_f64 v[121:122], v[12:13], v[151:152]
	ds_read_b64 v[123:124], v88
	v_fma_f64 v[20:21], v[20:21], v[137:138], v[119:120]
	s_waitcnt vmcnt(3)
	v_mul_f64 v[119:120], v[4:5], v[155:156]
	v_fma_f64 v[8:9], v[6:7], v[145:146], -v[30:31]
	v_mul_f64 v[6:7], v[6:7], v[147:148]
	v_mul_f64 v[30:31], v[22:23], v[155:156]
	v_fma_f64 v[12:13], v[12:13], v[149:150], v[18:19]
	s_waitcnt vmcnt(2)
	v_mul_f64 v[18:19], v[46:47], v[159:160]
	s_waitcnt lgkmcnt(0)
	v_mul_f64 v[129:130], v[123:124], v[159:160]
	v_fma_f64 v[2:3], v[2:3], v[149:150], -v[121:122]
	v_fma_f64 v[119:120], v[22:23], v[153:154], v[119:120]
	s_waitcnt vmcnt(1)
	v_mul_f64 v[22:23], v[10:11], v[167:168]
	v_fma_f64 v[6:7], v[24:25], v[145:146], v[6:7]
	v_fma_f64 v[4:5], v[4:5], v[153:154], -v[30:31]
	v_add_f64 v[24:25], v[20:21], v[12:13]
	v_fma_f64 v[18:19], v[123:124], v[157:158], v[18:19]
	v_fma_f64 v[30:31], v[46:47], v[157:158], -v[129:130]
	v_mul_f64 v[46:47], v[0:1], v[167:168]
	v_add_f64 v[129:130], v[28:29], v[2:3]
	ds_read_b64 v[125:126], v89
	ds_read_b64 v[127:128], v87 offset:26496
	s_waitcnt vmcnt(0)
	v_mul_f64 v[131:132], v[44:45], v[171:172]
	v_add_f64 v[133:134], v[28:29], -v[2:3]
	v_fma_f64 v[135:136], v[0:1], v[165:166], -v[22:23]
	v_fma_f64 v[24:25], v[24:25], -0.5, v[18:19]
	s_waitcnt lgkmcnt(0)
	v_mul_f64 v[123:124], v[127:128], v[171:172]
	v_add_f64 v[28:29], v[30:31], v[28:29]
	v_fma_f64 v[137:138], v[10:11], v[165:166], v[46:47]
	v_fma_f64 v[10:11], v[129:130], -0.5, v[30:31]
	v_add_f64 v[22:23], v[20:21], -v[12:13]
	v_mul_u32_u24_e32 v46, 0x120, v109
	v_mov_b32_e32 v109, 3
	v_fma_f64 v[30:31], v[133:134], s[0:1], v[24:25]
	v_fma_f64 v[0:1], v[44:45], v[169:170], -v[123:124]
	v_fma_f64 v[123:124], v[127:128], v[169:170], v[131:132]
	v_add_f64 v[2:3], v[28:29], v[2:3]
	v_add_f64 v[28:29], v[14:15], v[8:9]
	v_fma_f64 v[127:128], v[22:23], s[0:1], v[10:11]
	v_lshlrev_b32_sdwa v47, v109, v181 dst_sel:DWORD dst_unused:UNUSED_PAD src0_sel:DWORD src1_sel:BYTE_0
	v_add_f64 v[44:45], v[42:43], v[14:15]
	v_fma_f64 v[10:11], v[22:23], s[6:7], v[10:11]
	v_mul_f64 v[22:23], v[30:31], s[6:7]
	v_add3_u32 v167, 0, v46, v47
	v_fma_f64 v[24:25], v[133:134], s[6:7], v[24:25]
	v_fma_f64 v[28:29], v[28:29], -0.5, v[42:43]
	v_add_f64 v[42:43], v[16:17], -v[6:7]
	v_mul_f64 v[46:47], v[127:128], -0.5
	v_add_f64 v[44:45], v[44:45], v[8:9]
	v_add_f64 v[143:144], v[161:162], v[34:35]
	v_fma_f64 v[22:23], v[10:11], 0.5, v[22:23]
	v_add_f64 v[145:146], v[161:162], -v[34:35]
	v_add_f64 v[147:148], v[76:77], -v[78:79]
	ds_read_b64 v[121:122], v87
	v_fma_f64 v[133:134], v[42:43], s[6:7], v[28:29]
	v_fma_f64 v[28:29], v[42:43], s[0:1], v[28:29]
	;; [unrolled: 1-line block ×3, first 2 shown]
	v_add_f64 v[46:47], v[76:77], v[78:79]
	v_add_f64 v[139:140], v[44:45], v[2:3]
	ds_read_b64 v[129:130], v90
	ds_read_b64 v[131:132], v91
	s_waitcnt lgkmcnt(0)
	s_barrier
	v_add_f64 v[141:142], v[133:134], v[22:23]
	v_add_f64 v[22:23], v[133:134], -v[22:23]
	v_fma_f64 v[133:134], v[143:144], -0.5, v[175:176]
	v_fma_f64 v[46:47], v[46:47], -0.5, v[50:51]
	v_add_f64 v[2:3], v[44:45], -v[2:3]
	v_add_f64 v[44:45], v[28:29], v[42:43]
	v_add_f64 v[28:29], v[28:29], -v[42:43]
	v_add_f64 v[42:43], v[175:176], v[161:162]
	v_add_f64 v[143:144], v[66:67], v[80:81]
	ds_write2_b64 v167, v[139:140], v[141:142] offset1:6
	v_fma_f64 v[139:140], v[145:146], s[0:1], v[46:47]
	v_fma_f64 v[141:142], v[147:148], s[6:7], v[133:134]
	;; [unrolled: 1-line block ×3, first 2 shown]
	ds_write2_b64 v167, v[44:45], v[2:3] offset0:12 offset1:18
	ds_write2_b64 v167, v[22:23], v[28:29] offset0:24 offset1:30
	v_add_f64 v[22:23], v[40:41], v[66:67]
	v_add_f64 v[2:3], v[42:43], v[34:35]
	v_fma_f64 v[28:29], v[143:144], -0.5, v[40:41]
	v_add_f64 v[40:41], v[72:73], -v[74:75]
	v_mul_f64 v[34:35], v[139:140], s[6:7]
	v_mul_u32_u24_e32 v143, 0x120, v113
	v_lshlrev_b32_e32 v144, 3, v114
	v_add_f64 v[42:43], v[56:57], v[54:55]
	v_fma_f64 v[113:114], v[145:146], s[6:7], v[46:47]
	v_mul_f64 v[44:45], v[133:134], -0.5
	v_add_f64 v[22:23], v[22:23], v[80:81]
	v_fma_f64 v[46:47], v[40:41], s[6:7], v[28:29]
	v_fma_f64 v[34:35], v[141:142], 0.5, v[34:35]
	v_add3_u32 v168, 0, v143, v144
	v_add_f64 v[143:144], v[32:33], v[117:118]
	v_add_f64 v[145:146], v[32:33], -v[117:118]
	v_fma_f64 v[42:43], v[42:43], -0.5, v[48:49]
	v_fma_f64 v[28:29], v[40:41], s[0:1], v[28:29]
	v_fma_f64 v[40:41], v[113:114], s[6:7], v[44:45]
	v_add_f64 v[44:45], v[22:23], v[2:3]
	v_add_f64 v[147:148], v[46:47], v[34:35]
	;; [unrolled: 1-line block ×3, first 2 shown]
	v_fma_f64 v[143:144], v[143:144], -0.5, v[173:174]
	v_add_f64 v[151:152], v[56:57], -v[54:55]
	v_fma_f64 v[153:154], v[145:146], s[0:1], v[42:43]
	v_add_f64 v[2:3], v[22:23], -v[2:3]
	v_add_f64 v[22:23], v[28:29], v[40:41]
	v_add_f64 v[34:35], v[46:47], -v[34:35]
	v_add_f64 v[28:29], v[28:29], -v[40:41]
	v_add_f64 v[32:33], v[173:174], v[32:33]
	v_fma_f64 v[46:47], v[149:150], -0.5, v[38:39]
	v_add_f64 v[38:39], v[38:39], v[52:53]
	v_fma_f64 v[149:150], v[151:152], s[6:7], v[143:144]
	v_mul_f64 v[155:156], v[153:154], s[6:7]
	v_add_f64 v[157:158], v[58:59], -v[60:61]
	ds_write2_b64 v168, v[44:45], v[147:148] offset1:6
	ds_write2_b64 v168, v[22:23], v[2:3] offset0:12 offset1:18
	ds_write2_b64 v168, v[34:35], v[28:29] offset0:24 offset1:30
	v_add_f64 v[28:29], v[119:120], v[123:124]
	v_add_f64 v[40:41], v[4:5], v[0:1]
	v_fma_f64 v[143:144], v[151:152], s[0:1], v[143:144]
	v_add_f64 v[2:3], v[32:33], v[117:118]
	v_add_f64 v[22:23], v[38:39], v[70:71]
	v_fma_f64 v[32:33], v[149:150], 0.5, v[155:156]
	v_fma_f64 v[38:39], v[157:158], s[6:7], v[46:47]
	v_fma_f64 v[117:118], v[145:146], s[6:7], v[42:43]
	v_add_f64 v[145:146], v[4:5], -v[0:1]
	v_fma_f64 v[28:29], v[28:29], -0.5, v[62:63]
	v_fma_f64 v[40:41], v[40:41], -0.5, v[26:27]
	v_add_f64 v[147:148], v[119:120], -v[123:124]
	v_mul_u32_u24_e32 v151, 0x120, v112
	v_lshlrev_b32_e32 v152, 3, v111
	v_mul_f64 v[34:35], v[143:144], -0.5
	v_add_f64 v[42:43], v[22:23], v[2:3]
	v_add_f64 v[44:45], v[38:39], v[32:33]
	;; [unrolled: 1-line block ×3, first 2 shown]
	v_add3_u32 v169, 0, v151, v152
	v_fma_f64 v[151:152], v[145:146], s[0:1], v[28:29]
	v_fma_f64 v[155:156], v[147:148], s[0:1], v[40:41]
	;; [unrolled: 1-line block ×4, first 2 shown]
	v_add_f64 v[4:5], v[26:27], v[4:5]
	ds_write2_b64 v169, v[42:43], v[44:45] offset1:6
	v_fma_f64 v[26:27], v[111:112], -0.5, v[36:37]
	v_add_f64 v[36:37], v[36:37], v[64:65]
	v_fma_f64 v[111:112], v[147:148], s[6:7], v[40:41]
	v_mul_f64 v[40:41], v[151:152], s[6:7]
	v_add_f64 v[42:43], v[68:69], -v[137:138]
	v_fma_f64 v[145:146], v[145:146], s[6:7], v[28:29]
	v_mul_f64 v[28:29], v[155:156], -0.5
	v_add_f64 v[2:3], v[22:23], -v[2:3]
	v_add_f64 v[22:23], v[46:47], v[34:35]
	v_add_f64 v[32:33], v[38:39], -v[32:33]
	v_add_f64 v[0:1], v[4:5], v[0:1]
	v_add_f64 v[4:5], v[36:37], v[135:136]
	v_fma_f64 v[36:37], v[111:112], 0.5, v[40:41]
	v_fma_f64 v[38:39], v[42:43], s[6:7], v[26:27]
	v_fma_f64 v[26:27], v[42:43], s[0:1], v[26:27]
	;; [unrolled: 1-line block ×3, first 2 shown]
	v_add_f64 v[34:35], v[46:47], -v[34:35]
	ds_write2_b64 v169, v[22:23], v[2:3] offset0:12 offset1:18
	ds_write2_b64 v169, v[32:33], v[34:35] offset0:24 offset1:30
	v_add_f64 v[2:3], v[4:5], v[0:1]
	v_add_f64 v[22:23], v[38:39], v[36:37]
	v_add_f64 v[0:1], v[4:5], -v[0:1]
	v_add_f64 v[4:5], v[26:27], v[28:29]
	v_add_f64 v[26:27], v[26:27], -v[28:29]
	v_add_f64 v[28:29], v[121:122], v[16:17]
	v_add_f64 v[16:17], v[16:17], v[6:7]
	v_add_f64 v[32:33], v[38:39], -v[36:37]
	v_mul_u32_u24_e32 v34, 0x120, v115
	v_lshlrev_b32_e32 v35, 3, v116
	v_add3_u32 v170, 0, v34, v35
	v_add_f64 v[165:166], v[72:73], v[74:75]
	v_mul_f64 v[10:11], v[10:11], s[0:1]
	ds_write2_b64 v170, v[2:3], v[22:23] offset1:6
	ds_write2_b64 v170, v[4:5], v[0:1] offset0:12 offset1:18
	ds_write2_b64 v170, v[32:33], v[26:27] offset0:24 offset1:30
	v_fma_f64 v[0:1], v[16:17], -0.5, v[121:122]
	v_add_f64 v[2:3], v[14:15], -v[8:9]
	v_add_f64 v[72:73], v[125:126], v[72:73]
	v_add_f64 v[50:51], v[50:51], v[76:77]
	v_add_f64 v[66:67], v[66:67], -v[80:81]
	v_fma_f64 v[125:126], v[165:166], -0.5, v[125:126]
	v_mul_f64 v[80:81], v[141:142], s[0:1]
	v_mul_f64 v[113:114], v[113:114], -0.5
	v_fma_f64 v[115:116], v[30:31], 0.5, v[10:11]
	v_fma_f64 v[121:122], v[2:3], s[0:1], v[0:1]
	v_add_f64 v[72:73], v[72:73], v[74:75]
	v_add_f64 v[50:51], v[50:51], v[78:79]
	v_add_f64 v[52:53], v[52:53], -v[70:71]
	v_fma_f64 v[74:75], v[66:67], s[0:1], v[125:126]
	v_fma_f64 v[66:67], v[66:67], s[6:7], v[125:126]
	v_fma_f64 v[78:79], v[139:140], 0.5, v[80:81]
	v_fma_f64 v[80:81], v[133:134], s[0:1], v[113:114]
	v_add_f64 v[159:160], v[121:122], v[115:116]
	v_add_f64 v[76:77], v[121:122], -v[115:116]
	v_add_f64 v[121:122], v[58:59], v[60:61]
	v_add_f64 v[58:59], v[129:130], v[58:59]
	;; [unrolled: 1-line block ×3, first 2 shown]
	v_add_f64 v[50:51], v[72:73], -v[50:51]
	v_add_f64 v[48:49], v[48:49], v[56:57]
	v_add_f64 v[56:57], v[74:75], v[78:79]
	v_add_f64 v[72:73], v[74:75], -v[78:79]
	v_add_f64 v[74:75], v[66:67], v[80:81]
	v_mul_f64 v[78:79], v[149:150], s[0:1]
	v_add_f64 v[66:67], v[66:67], -v[80:81]
	v_add_f64 v[80:81], v[68:69], v[137:138]
	v_add_f64 v[18:19], v[18:19], v[20:21]
	v_mul_f64 v[16:17], v[24:25], -0.5
	v_fma_f64 v[113:114], v[121:122], -0.5, v[129:130]
	v_mul_f64 v[117:118], v[117:118], -0.5
	v_add_f64 v[58:59], v[58:59], v[60:61]
	v_add_f64 v[48:49], v[48:49], v[54:55]
	v_fma_f64 v[54:55], v[153:154], 0.5, v[78:79]
	v_add_f64 v[68:69], v[131:132], v[68:69]
	v_fma_f64 v[78:79], v[80:81], -0.5, v[131:132]
	v_add_f64 v[64:65], v[64:65], -v[135:136]
	v_add_f64 v[62:63], v[62:63], v[119:120]
	v_mul_f64 v[111:112], v[111:112], s[0:1]
	v_add_f64 v[20:21], v[28:29], v[6:7]
	v_add_f64 v[22:23], v[18:19], v[12:13]
	v_fma_f64 v[147:148], v[2:3], s[6:7], v[0:1]
	v_fma_f64 v[127:128], v[127:128], s[0:1], v[16:17]
	;; [unrolled: 1-line block ×4, first 2 shown]
	v_mul_f64 v[113:114], v[145:146], -0.5
	v_fma_f64 v[80:81], v[143:144], s[0:1], v[117:118]
	v_add_f64 v[117:118], v[58:59], v[48:49]
	v_add_f64 v[48:49], v[58:59], -v[48:49]
	v_add_f64 v[58:59], v[68:69], v[137:138]
	v_fma_f64 v[68:69], v[64:65], s[0:1], v[78:79]
	v_add_f64 v[62:63], v[62:63], v[123:124]
	v_fma_f64 v[64:65], v[64:65], s[6:7], v[78:79]
	v_fma_f64 v[78:79], v[151:152], 0.5, v[111:112]
	v_add_f64 v[157:158], v[20:21], v[22:23]
	v_add_f64 v[115:116], v[147:148], -v[127:128]
	v_fma_f64 v[111:112], v[155:156], s[0:1], v[113:114]
	v_add_f64 v[161:162], v[20:21], -v[22:23]
	v_add_f64 v[163:164], v[147:148], v[127:128]
	v_add_f64 v[113:114], v[60:61], v[54:55]
	v_add_f64 v[54:55], v[60:61], -v[54:55]
	v_add_f64 v[60:61], v[52:53], v[80:81]
	v_add_f64 v[52:53], v[52:53], -v[80:81]
	v_add_f64 v[80:81], v[58:59], v[62:63]
	v_add_f64 v[58:59], v[58:59], -v[62:63]
	v_add_f64 v[62:63], v[68:69], v[78:79]
	s_waitcnt lgkmcnt(0)
	s_barrier
	ds_read_b64 v[42:43], v87
	ds_read_b64 v[38:39], v90
	;; [unrolled: 1-line block ×5, first 2 shown]
	ds_read_b64 v[44:45], v87 offset:26496
	ds_read2_b64 v[12:15], v95 offset0:48 offset1:192
	ds_read2_b64 v[8:11], v94 offset0:48 offset1:192
	;; [unrolled: 1-line block ×9, first 2 shown]
	s_waitcnt lgkmcnt(0)
	s_barrier
	ds_write2_b64 v167, v[157:158], v[159:160] offset1:6
	ds_write2_b64 v167, v[163:164], v[161:162] offset0:12 offset1:18
	v_add_f64 v[68:69], v[68:69], -v[78:79]
	v_add_f64 v[78:79], v[64:65], v[111:112]
	v_add_f64 v[64:65], v[64:65], -v[111:112]
	ds_write2_b64 v167, v[76:77], v[115:116] offset0:24 offset1:30
	ds_write2_b64 v168, v[70:71], v[56:57] offset1:6
	ds_write2_b64 v168, v[74:75], v[50:51] offset0:12 offset1:18
	ds_write2_b64 v168, v[72:73], v[66:67] offset0:24 offset1:30
	ds_write2_b64 v169, v[117:118], v[113:114] offset1:6
	ds_write2_b64 v169, v[60:61], v[48:49] offset0:12 offset1:18
	ds_write2_b64 v169, v[54:55], v[52:53] offset0:24 offset1:30
	ds_write2_b64 v170, v[80:81], v[62:63] offset1:6
	ds_write2_b64 v170, v[78:79], v[58:59] offset0:12 offset1:18
	ds_write2_b64 v170, v[68:69], v[64:65] offset0:24 offset1:30
	v_mul_u32_u24_sdwa v48, v101, s8 dst_sel:DWORD dst_unused:UNUSED_PAD src0_sel:WORD_0 src1_sel:DWORD
	v_lshrrev_b32_e32 v112, 21, v48
	v_mul_lo_u16_e32 v48, 36, v112
	v_sub_u16_e32 v111, v101, v48
	v_mul_u32_u24_e32 v48, 5, v111
	v_lshlrev_b32_e32 v52, 4, v48
	s_waitcnt lgkmcnt(0)
	s_barrier
	global_load_dwordx4 v[48:51], v52, s[12:13] offset:480
	v_mul_u32_u24_sdwa v53, v102, s8 dst_sel:DWORD dst_unused:UNUSED_PAD src0_sel:WORD_0 src1_sel:DWORD
	v_lshrrev_b32_e32 v114, 21, v53
	v_mul_lo_u16_e32 v53, 36, v114
	v_sub_u16_e32 v113, v102, v53
	v_mul_u32_u24_e32 v53, 5, v113
	v_lshlrev_b32_e32 v53, 4, v53
	global_load_dwordx4 v[54:57], v53, s[12:13] offset:480
	global_load_dwordx4 v[58:61], v52, s[12:13] offset:496
	;; [unrolled: 1-line block ×8, first 2 shown]
	v_mov_b32_e32 v52, 57
	v_mul_lo_u16_sdwa v52, v100, v52 dst_sel:DWORD dst_unused:UNUSED_PAD src0_sel:BYTE_0 src1_sel:DWORD
	v_lshrrev_b16_e32 v117, 11, v52
	global_load_dwordx4 v[130:133], v53, s[12:13] offset:544
	v_mul_lo_u16_e32 v52, 36, v117
	v_sub_u16_e32 v116, v100, v52
	v_mul_u32_u24_sdwa v52, v116, v110 dst_sel:DWORD dst_unused:UNUSED_PAD src0_sel:BYTE_0 src1_sel:DWORD
	v_lshlrev_b32_e32 v52, 4, v52
	global_load_dwordx4 v[134:137], v52, s[12:13] offset:496
	v_mul_u32_u24_sdwa v53, v105, s8 dst_sel:DWORD dst_unused:UNUSED_PAD src0_sel:WORD_0 src1_sel:DWORD
	v_lshrrev_b32_e32 v110, 21, v53
	v_mul_lo_u16_e32 v53, 36, v110
	v_sub_u16_e32 v115, v105, v53
	v_mul_u32_u24_e32 v53, 5, v115
	v_lshlrev_b32_e32 v174, 4, v53
	global_load_dwordx4 v[138:141], v174, s[12:13] offset:480
	global_load_dwordx4 v[142:145], v52, s[12:13] offset:512
	global_load_dwordx4 v[146:149], v174, s[12:13] offset:496
	global_load_dwordx4 v[150:153], v52, s[12:13] offset:544
	global_load_dwordx4 v[154:157], v52, s[12:13] offset:528
	global_load_dwordx4 v[158:161], v174, s[12:13] offset:512
	ds_read2_b64 v[70:73], v83 offset0:80 offset1:224
	global_load_dwordx4 v[162:165], v52, s[12:13] offset:480
	global_load_dwordx4 v[166:169], v174, s[12:13] offset:528
	ds_read2_b64 v[78:81], v82 offset0:16 offset1:160
	global_load_dwordx4 v[174:177], v174, s[12:13] offset:544
	ds_read2_b64 v[178:181], v106 offset0:80 offset1:224
	v_mul_u32_u24_e32 v106, 0x6c0, v117
	v_lshlrev_b32_sdwa v109, v109, v116 dst_sel:DWORD dst_unused:UNUSED_PAD src0_sel:DWORD src1_sel:BYTE_0
	s_waitcnt vmcnt(19) lgkmcnt(2)
	v_mul_f64 v[52:53], v[70:71], v[50:51]
	v_mul_f64 v[50:51], v[28:29], v[50:51]
	s_waitcnt vmcnt(18)
	v_mul_f64 v[170:171], v[72:73], v[56:57]
	v_fma_f64 v[82:83], v[28:29], v[48:49], -v[52:53]
	v_fma_f64 v[52:53], v[70:71], v[48:49], v[50:51]
	v_mul_f64 v[48:49], v[30:31], v[56:57]
	s_waitcnt vmcnt(17) lgkmcnt(1)
	v_mul_f64 v[50:51], v[78:79], v[60:61]
	v_fma_f64 v[28:29], v[30:31], v[54:55], -v[170:171]
	s_waitcnt vmcnt(16)
	v_mul_f64 v[56:57], v[80:81], v[64:65]
	ds_read2_b64 v[170:173], v108 offset0:80 offset1:224
	v_mul_f64 v[30:31], v[24:25], v[60:61]
	v_mul_f64 v[60:61], v[26:27], v[64:65]
	v_fma_f64 v[48:49], v[72:73], v[54:55], v[48:49]
	s_waitcnt vmcnt(15) lgkmcnt(0)
	v_mul_f64 v[70:71], v[170:171], v[68:69]
	v_fma_f64 v[64:65], v[24:25], v[58:59], -v[50:51]
	v_fma_f64 v[50:51], v[26:27], v[62:63], -v[56:57]
	ds_read2_b64 v[24:27], v107 offset0:16 offset1:160
	s_waitcnt vmcnt(14)
	v_mul_f64 v[56:57], v[172:173], v[76:77]
	v_fma_f64 v[72:73], v[78:79], v[58:59], v[30:31]
	v_mul_f64 v[30:31], v[16:17], v[68:69]
	v_mul_f64 v[58:59], v[18:19], v[76:77]
	v_fma_f64 v[107:108], v[16:17], v[66:67], -v[70:71]
	s_waitcnt vmcnt(13) lgkmcnt(0)
	v_mul_f64 v[16:17], v[24:25], v[120:121]
	v_fma_f64 v[54:55], v[80:81], v[62:63], v[60:61]
	s_waitcnt vmcnt(12)
	v_mul_f64 v[62:63], v[26:27], v[124:125]
	v_fma_f64 v[18:19], v[18:19], v[74:75], -v[56:57]
	v_mul_f64 v[56:57], v[22:23], v[124:125]
	v_fma_f64 v[76:77], v[170:171], v[66:67], v[30:31]
	v_mul_f64 v[30:31], v[20:21], v[120:121]
	v_fma_f64 v[60:61], v[172:173], v[74:75], v[58:59]
	v_fma_f64 v[78:79], v[20:21], v[118:119], -v[16:17]
	s_waitcnt vmcnt(11)
	v_mul_f64 v[16:17], v[178:179], v[128:129]
	v_mul_f64 v[20:21], v[32:33], v[128:129]
	s_waitcnt vmcnt(10)
	v_mul_f64 v[58:59], v[180:181], v[132:133]
	v_fma_f64 v[56:57], v[26:27], v[122:123], v[56:57]
	v_mul_f64 v[26:27], v[34:35], v[132:133]
	v_fma_f64 v[74:75], v[24:25], v[118:119], v[30:31]
	v_fma_f64 v[68:69], v[22:23], v[122:123], -v[62:63]
	ds_read2_b64 v[22:25], v95 offset0:48 offset1:192
	v_fma_f64 v[118:119], v[32:33], v[126:127], -v[16:17]
	ds_read2_b64 v[30:33], v94 offset0:48 offset1:192
	v_fma_f64 v[80:81], v[178:179], v[126:127], v[20:21]
	s_waitcnt vmcnt(9)
	v_mul_f64 v[62:63], v[14:15], v[136:137]
	s_waitcnt lgkmcnt(1)
	v_mul_f64 v[16:17], v[24:25], v[136:137]
	v_fma_f64 v[20:21], v[34:35], v[130:131], -v[58:59]
	v_fma_f64 v[58:59], v[180:181], v[130:131], v[26:27]
	s_waitcnt vmcnt(8)
	v_mul_f64 v[26:27], v[12:13], v[140:141]
	s_waitcnt vmcnt(7) lgkmcnt(0)
	v_mul_f64 v[66:67], v[32:33], v[144:145]
	s_waitcnt vmcnt(6)
	v_mul_f64 v[94:95], v[30:31], v[148:149]
	v_mul_f64 v[34:35], v[22:23], v[140:141]
	;; [unrolled: 1-line block ×3, first 2 shown]
	v_fma_f64 v[14:15], v[14:15], v[134:135], -v[16:17]
	v_fma_f64 v[16:17], v[24:25], v[134:135], v[62:63]
	v_mul_f64 v[120:121], v[8:9], v[148:149]
	v_fma_f64 v[62:63], v[22:23], v[138:139], v[26:27]
	v_fma_f64 v[26:27], v[10:11], v[142:143], -v[66:67]
	v_fma_f64 v[66:67], v[8:9], v[146:147], -v[94:95]
	s_waitcnt vmcnt(5)
	v_mul_f64 v[8:9], v[2:3], v[152:153]
	v_fma_f64 v[12:13], v[12:13], v[138:139], -v[34:35]
	v_fma_f64 v[10:11], v[32:33], v[142:143], v[70:71]
	ds_read2_b64 v[22:25], v93 offset0:48 offset1:192
	ds_read2_b64 v[32:35], v92 offset0:48 offset1:192
	v_fma_f64 v[70:71], v[30:31], v[146:147], v[120:121]
	s_waitcnt vmcnt(2)
	v_mul_f64 v[124:125], v[46:47], v[164:165]
	v_mul_f64 v[122:123], v[4:5], v[160:161]
	s_waitcnt lgkmcnt(1)
	v_mul_f64 v[30:31], v[24:25], v[152:153]
	v_fma_f64 v[8:9], v[24:25], v[150:151], v[8:9]
	ds_read_b64 v[24:25], v88
	s_waitcnt lgkmcnt(1)
	v_mul_f64 v[92:93], v[34:35], v[156:157]
	v_mul_f64 v[120:121], v[32:33], v[160:161]
	;; [unrolled: 1-line block ×3, first 2 shown]
	ds_read_b64 v[126:127], v89
	ds_read_b64 v[128:129], v87 offset:26496
	s_waitcnt lgkmcnt(2)
	v_mul_f64 v[130:131], v[24:25], v[164:165]
	v_fma_f64 v[2:3], v[2:3], v[150:151], -v[30:31]
	s_waitcnt vmcnt(1)
	v_mul_f64 v[30:31], v[22:23], v[168:169]
	v_fma_f64 v[24:25], v[24:25], v[162:163], v[124:125]
	v_add_f64 v[124:125], v[10:11], v[8:9]
	v_fma_f64 v[6:7], v[6:7], v[154:155], -v[92:93]
	v_fma_f64 v[4:5], v[4:5], v[158:159], -v[120:121]
	v_fma_f64 v[120:121], v[32:33], v[158:159], v[122:123]
	v_fma_f64 v[34:35], v[34:35], v[154:155], v[94:95]
	v_add_f64 v[32:33], v[26:27], v[2:3]
	v_fma_f64 v[122:123], v[0:1], v[166:167], -v[30:31]
	v_fma_f64 v[30:31], v[46:47], v[162:163], -v[130:131]
	v_fma_f64 v[46:47], v[124:125], -0.5, v[24:25]
	v_add_f64 v[92:93], v[26:27], -v[2:3]
	v_mul_f64 v[0:1], v[0:1], v[168:169]
	s_waitcnt vmcnt(0) lgkmcnt(0)
	v_mul_f64 v[124:125], v[128:129], v[176:177]
	v_add_f64 v[132:133], v[14:15], v[6:7]
	v_add_f64 v[134:135], v[10:11], -v[8:9]
	v_mul_f64 v[130:131], v[44:45], v[176:177]
	v_fma_f64 v[32:33], v[32:33], -0.5, v[30:31]
	v_add_f64 v[26:27], v[30:31], v[26:27]
	v_fma_f64 v[136:137], v[92:93], s[0:1], v[46:47]
	v_fma_f64 v[138:139], v[22:23], v[166:167], v[0:1]
	v_fma_f64 v[0:1], v[44:45], v[174:175], -v[124:125]
	v_fma_f64 v[22:23], v[132:133], -0.5, v[42:43]
	v_add_f64 v[30:31], v[42:43], v[14:15]
	v_fma_f64 v[46:47], v[92:93], s[6:7], v[46:47]
	v_fma_f64 v[42:43], v[134:135], s[6:7], v[32:33]
	v_add_f64 v[2:3], v[26:27], v[2:3]
	v_mul_f64 v[44:45], v[136:137], s[6:7]
	v_add_f64 v[26:27], v[16:17], -v[34:35]
	v_fma_f64 v[116:117], v[134:135], s[0:1], v[32:33]
	v_add_f64 v[92:93], v[76:77], v[80:81]
	v_add_f64 v[30:31], v[30:31], v[6:7]
	;; [unrolled: 1-line block ×3, first 2 shown]
	v_add_f64 v[144:145], v[76:77], -v[80:81]
	v_add3_u32 v166, 0, v106, v109
	v_fma_f64 v[32:33], v[42:43], 0.5, v[44:45]
	v_fma_f64 v[44:45], v[26:27], s[6:7], v[22:23]
	v_mul_f64 v[132:133], v[116:117], -0.5
	v_fma_f64 v[22:23], v[26:27], s[0:1], v[22:23]
	v_add_f64 v[140:141], v[30:31], v[2:3]
	v_add_f64 v[26:27], v[107:108], -v[118:119]
	v_fma_f64 v[92:93], v[92:93], -0.5, v[52:53]
	v_fma_f64 v[134:135], v[134:135], -0.5, v[82:83]
	ds_read_b64 v[94:95], v87
	v_add_f64 v[142:143], v[44:45], v[32:33]
	v_fma_f64 v[132:133], v[46:47], s[6:7], v[132:133]
	v_fma_f64 v[124:125], v[128:129], v[174:175], v[130:131]
	ds_read_b64 v[128:129], v90
	ds_read_b64 v[130:131], v91
	s_waitcnt lgkmcnt(0)
	s_barrier
	v_add_f64 v[146:147], v[64:65], v[78:79]
	ds_write2_b64 v166, v[140:141], v[142:143] offset1:36
	v_add_f64 v[2:3], v[30:31], -v[2:3]
	v_fma_f64 v[140:141], v[26:27], s[0:1], v[92:93]
	v_add_f64 v[30:31], v[22:23], v[132:133]
	v_add_f64 v[32:33], v[44:45], -v[32:33]
	v_add_f64 v[22:23], v[22:23], -v[132:133]
	v_fma_f64 v[142:143], v[144:145], s[0:1], v[134:135]
	v_add_f64 v[44:45], v[82:83], v[107:108]
	v_fma_f64 v[82:83], v[146:147], -0.5, v[40:41]
	v_add_f64 v[40:41], v[40:41], v[64:65]
	v_fma_f64 v[134:135], v[144:145], s[6:7], v[134:135]
	v_mul_f64 v[106:107], v[140:141], s[6:7]
	v_add_f64 v[108:109], v[72:73], -v[74:75]
	ds_write2_b64 v166, v[32:33], v[22:23] offset0:144 offset1:180
	v_add_f64 v[22:23], v[60:61], v[58:59]
	v_fma_f64 v[144:145], v[26:27], s[6:7], v[92:93]
	v_mul_f64 v[26:27], v[142:143], -0.5
	ds_write2_b64 v166, v[30:31], v[2:3] offset0:72 offset1:108
	v_add_f64 v[2:3], v[44:45], v[118:119]
	v_add_f64 v[30:31], v[40:41], v[78:79]
	v_fma_f64 v[40:41], v[134:135], 0.5, v[106:107]
	v_fma_f64 v[44:45], v[108:109], s[6:7], v[82:83]
	v_fma_f64 v[82:83], v[108:109], s[0:1], v[82:83]
	v_add_f64 v[32:33], v[18:19], v[20:21]
	v_add_f64 v[108:109], v[18:19], -v[20:21]
	v_fma_f64 v[22:23], v[22:23], -0.5, v[48:49]
	v_fma_f64 v[26:27], v[144:145], s[6:7], v[26:27]
	v_mul_u32_u24_e32 v118, 0x6c0, v112
	v_lshlrev_b32_e32 v119, 3, v111
	v_add_f64 v[92:93], v[30:31], v[2:3]
	v_add_f64 v[106:107], v[44:45], v[40:41]
	v_fma_f64 v[32:33], v[32:33], -0.5, v[28:29]
	v_add_f64 v[111:112], v[60:61], -v[58:59]
	v_add3_u32 v167, 0, v118, v119
	v_add_f64 v[118:119], v[50:51], v[68:69]
	v_fma_f64 v[132:133], v[108:109], s[0:1], v[22:23]
	v_add_f64 v[2:3], v[30:31], -v[2:3]
	v_add_f64 v[30:31], v[82:83], v[26:27]
	ds_write2_b64 v167, v[92:93], v[106:107] offset1:36
	ds_write2_b64 v167, v[30:31], v[2:3] offset0:72 offset1:108
	v_add_f64 v[2:3], v[44:45], -v[40:41]
	v_add_f64 v[26:27], v[82:83], -v[26:27]
	v_fma_f64 v[146:147], v[111:112], s[0:1], v[32:33]
	v_add_f64 v[18:19], v[28:29], v[18:19]
	v_fma_f64 v[28:29], v[118:119], -0.5, v[38:39]
	v_add_f64 v[30:31], v[38:39], v[50:51]
	v_fma_f64 v[38:39], v[111:112], s[6:7], v[32:33]
	v_mul_f64 v[32:33], v[132:133], s[6:7]
	v_add_f64 v[40:41], v[54:55], -v[56:57]
	ds_write2_b64 v167, v[2:3], v[26:27] offset0:144 offset1:180
	v_fma_f64 v[118:119], v[108:109], s[6:7], v[22:23]
	v_add_f64 v[2:3], v[18:19], v[20:21]
	v_mul_f64 v[22:23], v[146:147], -0.5
	v_add_f64 v[18:19], v[30:31], v[68:69]
	v_add_f64 v[92:93], v[4:5], -v[0:1]
	v_fma_f64 v[20:21], v[38:39], 0.5, v[32:33]
	v_add_f64 v[32:33], v[120:121], v[124:125]
	v_fma_f64 v[26:27], v[40:41], s[6:7], v[28:29]
	v_fma_f64 v[28:29], v[40:41], s[0:1], v[28:29]
	v_add_f64 v[40:41], v[4:5], v[0:1]
	v_fma_f64 v[22:23], v[118:119], s[6:7], v[22:23]
	v_add_f64 v[106:107], v[120:121], -v[124:125]
	v_add_f64 v[82:83], v[94:95], v[16:17]
	v_add_f64 v[16:17], v[16:17], v[34:35]
	v_fma_f64 v[32:33], v[32:33], -0.5, v[62:63]
	v_add_f64 v[10:11], v[24:25], v[10:11]
	v_mul_u32_u24_e32 v30, 0x6c0, v114
	v_fma_f64 v[40:41], v[40:41], -0.5, v[12:13]
	v_lshlrev_b32_e32 v31, 3, v113
	v_add3_u32 v168, 0, v30, v31
	v_add_f64 v[30:31], v[18:19], v[2:3]
	v_add_f64 v[44:45], v[26:27], v[20:21]
	;; [unrolled: 1-line block ×3, first 2 shown]
	v_fma_f64 v[112:113], v[92:93], s[0:1], v[32:33]
	v_add_f64 v[2:3], v[18:19], -v[2:3]
	v_add_f64 v[18:19], v[28:29], v[22:23]
	v_fma_f64 v[148:149], v[106:107], s[0:1], v[40:41]
	v_fma_f64 v[16:17], v[16:17], -0.5, v[94:95]
	v_add_f64 v[6:7], v[14:15], -v[6:7]
	v_add_f64 v[154:155], v[10:11], v[8:9]
	v_mul_f64 v[8:9], v[42:43], s[0:1]
	v_add_f64 v[164:165], v[72:73], v[74:75]
	ds_write2_b64 v168, v[30:31], v[44:45] offset1:36
	ds_write2_b64 v168, v[18:19], v[2:3] offset0:72 offset1:108
	v_fma_f64 v[18:19], v[108:109], -0.5, v[36:37]
	v_add_f64 v[24:25], v[70:71], -v[138:139]
	v_add_f64 v[30:31], v[36:37], v[66:67]
	v_add_f64 v[4:5], v[12:13], v[4:5]
	v_fma_f64 v[150:151], v[106:107], s[6:7], v[40:41]
	v_mul_f64 v[12:13], v[112:113], s[6:7]
	v_fma_f64 v[152:153], v[92:93], s[6:7], v[32:33]
	v_mul_f64 v[32:33], v[148:149], -0.5
	v_fma_f64 v[136:137], v[136:137], 0.5, v[8:9]
	v_lshlrev_b32_e32 v9, 3, v115
	v_fma_f64 v[114:115], v[6:7], s[0:1], v[16:17]
	v_add_f64 v[52:53], v[52:53], v[76:77]
	v_add_f64 v[72:73], v[126:127], v[72:73]
	v_fma_f64 v[76:77], v[164:165], -0.5, v[126:127]
	v_mul_f64 v[126:127], v[134:135], s[0:1]
	v_add_f64 v[64:65], v[64:65], -v[78:79]
	v_add_f64 v[20:21], v[26:27], -v[20:21]
	v_add_f64 v[26:27], v[30:31], v[122:123]
	v_add_f64 v[0:1], v[4:5], v[0:1]
	v_fma_f64 v[4:5], v[24:25], s[6:7], v[18:19]
	v_fma_f64 v[12:13], v[150:151], 0.5, v[12:13]
	v_fma_f64 v[18:19], v[24:25], s[0:1], v[18:19]
	v_fma_f64 v[24:25], v[152:153], s[6:7], v[32:33]
	v_add_f64 v[160:161], v[114:115], v[136:137]
	v_add_f64 v[78:79], v[114:115], -v[136:137]
	v_mul_f64 v[114:115], v[144:145], -0.5
	v_add_f64 v[72:73], v[72:73], v[74:75]
	v_add_f64 v[52:53], v[52:53], v[80:81]
	v_fma_f64 v[74:75], v[140:141], 0.5, v[126:127]
	v_fma_f64 v[80:81], v[64:65], s[0:1], v[76:77]
	v_add_f64 v[22:23], v[28:29], -v[22:23]
	v_add_f64 v[10:11], v[26:27], v[0:1]
	v_add_f64 v[14:15], v[4:5], v[12:13]
	;; [unrolled: 1-line block ×3, first 2 shown]
	v_add_f64 v[0:1], v[26:27], -v[0:1]
	v_add_f64 v[4:5], v[4:5], -v[12:13]
	v_add_f64 v[12:13], v[18:19], v[24:25]
	v_add_f64 v[18:19], v[18:19], -v[24:25]
	v_fma_f64 v[64:65], v[64:65], s[6:7], v[76:77]
	v_fma_f64 v[76:77], v[142:143], s[0:1], v[114:115]
	v_mul_u32_u24_e32 v8, 0x6c0, v110
	v_add3_u32 v169, 0, v8, v9
	v_add_f64 v[54:55], v[128:129], v[54:55]
	v_add_f64 v[50:51], v[50:51], -v[68:69]
	v_add_f64 v[68:69], v[72:73], v[52:53]
	v_add_f64 v[52:53], v[72:73], -v[52:53]
	v_add_f64 v[48:49], v[48:49], v[60:61]
	v_add_f64 v[60:61], v[80:81], v[74:75]
	v_add_f64 v[72:73], v[80:81], -v[74:75]
	v_add_f64 v[80:81], v[70:71], v[138:139]
	ds_write2_b64 v168, v[20:21], v[22:23] offset0:144 offset1:180
	ds_write2_b64 v169, v[10:11], v[14:15] offset1:36
	ds_write2_b64 v169, v[12:13], v[0:1] offset0:72 offset1:108
	ds_write2_b64 v169, v[4:5], v[18:19] offset0:144 offset1:180
	v_mul_f64 v[0:1], v[46:47], -0.5
	v_fma_f64 v[114:115], v[134:135], -0.5, v[128:129]
	v_mul_f64 v[38:39], v[38:39], s[0:1]
	v_add_f64 v[74:75], v[64:65], v[76:77]
	v_add_f64 v[64:65], v[64:65], -v[76:77]
	v_mul_f64 v[76:77], v[118:119], -0.5
	v_add_f64 v[54:55], v[54:55], v[56:57]
	v_add_f64 v[48:49], v[48:49], v[58:59]
	v_fma_f64 v[58:59], v[80:81], -0.5, v[130:131]
	v_add_f64 v[70:71], v[130:131], v[70:71]
	v_add_f64 v[66:67], v[66:67], -v[122:123]
	v_add_f64 v[62:63], v[62:63], v[120:121]
	v_mul_f64 v[80:81], v[150:151], s[0:1]
	v_add_f64 v[2:3], v[82:83], v[34:35]
	v_fma_f64 v[156:157], v[6:7], s[6:7], v[16:17]
	v_fma_f64 v[116:117], v[116:117], s[0:1], v[0:1]
	;; [unrolled: 1-line block ×4, first 2 shown]
	v_mul_f64 v[114:115], v[152:153], -0.5
	v_fma_f64 v[38:39], v[132:133], 0.5, v[38:39]
	v_fma_f64 v[76:77], v[146:147], s[0:1], v[76:77]
	v_add_f64 v[118:119], v[54:55], v[48:49]
	v_add_f64 v[48:49], v[54:55], -v[48:49]
	v_add_f64 v[54:55], v[70:71], v[138:139]
	v_fma_f64 v[70:71], v[66:67], s[0:1], v[58:59]
	v_add_f64 v[62:63], v[62:63], v[124:125]
	v_fma_f64 v[58:59], v[66:67], s[6:7], v[58:59]
	v_fma_f64 v[66:67], v[112:113], 0.5, v[80:81]
	v_add_f64 v[158:159], v[2:3], v[154:155]
	v_add_f64 v[162:163], v[156:157], v[116:117]
	v_add_f64 v[116:117], v[156:157], -v[116:117]
	v_fma_f64 v[80:81], v[148:149], s[0:1], v[114:115]
	v_add_f64 v[154:155], v[2:3], -v[154:155]
	v_add_f64 v[112:113], v[56:57], v[38:39]
	v_add_f64 v[38:39], v[56:57], -v[38:39]
	v_add_f64 v[56:57], v[50:51], v[76:77]
	v_add_f64 v[50:51], v[50:51], -v[76:77]
	v_add_u32_e32 v95, 0x2400, v87
	v_add_u32_e32 v110, 0x4800, v87
	v_add_f64 v[76:77], v[54:55], v[62:63]
	v_add_f64 v[54:55], v[54:55], -v[62:63]
	v_add_f64 v[62:63], v[70:71], v[66:67]
	s_waitcnt lgkmcnt(0)
	s_barrier
	v_add_u32_e32 v92, 0x1800, v87
	v_add_u32_e32 v93, 0x3400, v87
	;; [unrolled: 1-line block ×5, first 2 shown]
	ds_read_b64 v[44:45], v90
	ds_read_b64 v[40:41], v91
	v_add_u32_e32 v109, 0x2c00, v87
	v_add_u32_e32 v111, 0x6000, v87
	v_lshl_add_u32 v108, v104, 3, 0
	ds_read_b64 v[82:83], v87
	ds_read_b64 v[36:37], v88
	;; [unrolled: 1-line block ×4, first 2 shown]
	ds_read2_b64 v[32:35], v92 offset0:96 offset1:240
	ds_read2_b64 v[28:31], v93 offset0:64 offset1:208
	;; [unrolled: 1-line block ×3, first 2 shown]
	ds_read2_b64 v[20:23], v95 offset1:144
	ds_read2_b64 v[16:19], v107 offset0:96 offset1:240
	ds_read2_b64 v[12:15], v106 offset0:64 offset1:208
	ds_read2_b64 v[8:11], v109 offset0:32 offset1:176
	ds_read2_b64 v[4:7], v110 offset1:144
	ds_read2_b64 v[0:3], v111 offset0:96 offset1:240
	s_waitcnt lgkmcnt(0)
	s_barrier
	ds_write2_b64 v166, v[158:159], v[160:161] offset1:36
	ds_write2_b64 v166, v[162:163], v[154:155] offset0:72 offset1:108
	v_add_f64 v[66:67], v[70:71], -v[66:67]
	v_add_f64 v[70:71], v[58:59], v[80:81]
	v_add_f64 v[58:59], v[58:59], -v[80:81]
	ds_write2_b64 v166, v[78:79], v[116:117] offset0:144 offset1:180
	ds_write2_b64 v167, v[68:69], v[60:61] offset1:36
	ds_write2_b64 v167, v[74:75], v[52:53] offset0:72 offset1:108
	ds_write2_b64 v167, v[72:73], v[64:65] offset0:144 offset1:180
	ds_write2_b64 v168, v[118:119], v[112:113] offset1:36
	ds_write2_b64 v168, v[56:57], v[48:49] offset0:72 offset1:108
	;; [unrolled: 3-line block ×3, first 2 shown]
	ds_write2_b64 v169, v[66:67], v[58:59] offset0:144 offset1:180
	v_mul_u32_u24_e32 v38, 3, v100
	s_movk_i32 s0, 0x48
	v_lshlrev_b32_e32 v75, 4, v38
	v_add_u32_e32 v38, 0xffffffb8, v100
	v_cmp_gt_u32_e64 s[0:1], s0, v100
	v_cndmask_b32_e64 v50, v38, v101, s[0:1]
	v_mov_b32_e32 v39, 0
	v_mul_i32_i24_e32 v38, 3, v50
	s_waitcnt lgkmcnt(0)
	s_barrier
	global_load_dwordx4 v[51:54], v75, s[12:13] offset:3360
	v_lshlrev_b64 v[48:49], 4, v[38:39]
	v_mov_b32_e32 v76, s13
	v_add_co_u32_e64 v48, s[0:1], s12, v48
	v_addc_co_u32_e64 v49, s[0:1], v76, v49, s[0:1]
	global_load_dwordx4 v[55:58], v[48:49], off offset:3360
	global_load_dwordx4 v[59:62], v75, s[12:13] offset:3376
	global_load_dwordx4 v[63:66], v75, s[12:13] offset:3392
	global_load_dwordx4 v[67:70], v[48:49], off offset:3376
	global_load_dwordx4 v[71:74], v[48:49], off offset:3392
	v_add_co_u32_e64 v48, s[0:1], s12, v75
	v_addc_co_u32_e64 v49, s[0:1], 0, v76, s[0:1]
	s_movk_i32 s0, 0x1000
	v_add_co_u32_e64 v75, s[0:1], s0, v48
	v_addc_co_u32_e64 v76, s[0:1], 0, v49, s[0:1]
	global_load_dwordx4 v[75:78], v[75:76], off offset:2720
	v_lshrrev_b16_e32 v38, 3, v105
	v_mul_u32_u24_e32 v38, 0x12f7, v38
	v_lshrrev_b32_e32 v38, 17, v38
	v_mul_lo_u16_e32 v38, 0xd8, v38
	v_sub_u16_e32 v38, v105, v38
	v_mul_u32_u24_e32 v79, 3, v38
	v_lshlrev_b32_e32 v81, 4, v79
	global_load_dwordx4 v[112:115], v81, s[12:13] offset:3360
	s_movk_i32 s0, 0x1aa0
	v_add_co_u32_e64 v79, s[0:1], s0, v48
	v_addc_co_u32_e64 v80, s[0:1], 0, v49, s[0:1]
	global_load_dwordx4 v[116:119], v[79:80], off offset:16
	global_load_dwordx4 v[120:123], v81, s[12:13] offset:3376
	global_load_dwordx4 v[124:127], v[79:80], off offset:32
                                        ; kill: killed $vgpr79 killed $vgpr80
	global_load_dwordx4 v[128:131], v81, s[12:13] offset:3392
	v_lshrrev_b16_e32 v79, 3, v103
	v_mul_u32_u24_e32 v79, 0x12f7, v79
	v_lshrrev_b32_e32 v168, 17, v79
	v_lshrrev_b16_e32 v80, 3, v104
	v_mul_lo_u16_e32 v79, 0xd8, v168
	v_mul_u32_u24_e32 v80, 0x12f7, v80
	v_sub_u16_e32 v169, v103, v79
	v_lshrrev_b32_e32 v80, 17, v80
	v_mul_u32_u24_e32 v79, 3, v169
	v_mul_lo_u16_e32 v80, 0xd8, v80
	v_lshlrev_b32_e32 v79, 4, v79
	v_sub_u16_e32 v170, v104, v80
	global_load_dwordx4 v[132:135], v79, s[12:13] offset:3360
	v_mul_u32_u24_e32 v80, 3, v170
	v_lshlrev_b32_e32 v81, 4, v80
	global_load_dwordx4 v[136:139], v81, s[12:13] offset:3360
	global_load_dwordx4 v[140:143], v79, s[12:13] offset:3376
	;; [unrolled: 1-line block ×5, first 2 shown]
	ds_read2_b64 v[148:151], v92 offset0:96 offset1:240
	ds_read2_b64 v[160:163], v93 offset0:64 offset1:208
	s_movk_i32 s0, 0x47
	v_cmp_lt_u32_e64 s[0:1], s0, v100
	s_waitcnt vmcnt(17) lgkmcnt(1)
	v_mul_f64 v[79:80], v[148:149], v[53:54]
	v_mul_f64 v[53:54], v[32:33], v[53:54]
	s_waitcnt vmcnt(16)
	v_mul_f64 v[164:165], v[150:151], v[57:58]
	v_mul_f64 v[57:58], v[34:35], v[57:58]
	s_waitcnt vmcnt(15) lgkmcnt(0)
	v_mul_f64 v[166:167], v[160:161], v[61:62]
	v_mul_f64 v[61:62], v[28:29], v[61:62]
	v_fma_f64 v[79:80], v[32:33], v[51:52], -v[79:80]
	v_fma_f64 v[148:149], v[148:149], v[51:52], v[53:54]
	ds_read2_b64 v[51:54], v95 offset1:144
	v_fma_f64 v[164:165], v[34:35], v[55:56], -v[164:165]
	ds_read2_b64 v[32:35], v94 offset0:32 offset1:176
	v_fma_f64 v[55:56], v[150:151], v[55:56], v[57:58]
	s_waitcnt vmcnt(13)
	v_mul_f64 v[57:58], v[162:163], v[69:70]
	v_fma_f64 v[150:151], v[28:29], v[59:60], -v[166:167]
	v_mul_f64 v[28:29], v[30:31], v[69:70]
	s_waitcnt lgkmcnt(0)
	v_mul_f64 v[69:70], v[32:33], v[65:66]
	v_fma_f64 v[59:60], v[160:161], v[59:60], v[61:62]
	s_waitcnt vmcnt(12)
	v_mul_f64 v[61:62], v[34:35], v[73:74]
	v_mul_f64 v[65:66], v[24:25], v[65:66]
	v_fma_f64 v[57:58], v[30:31], v[67:68], -v[57:58]
	v_mul_f64 v[30:31], v[26:27], v[73:74]
	s_waitcnt vmcnt(11)
	v_mul_f64 v[73:74], v[51:52], v[77:78]
	v_fma_f64 v[67:68], v[162:163], v[67:68], v[28:29]
	v_mul_f64 v[28:29], v[20:21], v[77:78]
	v_fma_f64 v[69:70], v[24:25], v[63:64], -v[69:70]
	v_fma_f64 v[61:62], v[26:27], v[71:72], -v[61:62]
	ds_read2_b64 v[24:27], v107 offset0:96 offset1:240
	v_fma_f64 v[32:33], v[32:33], v[63:64], v[65:66]
	v_fma_f64 v[34:35], v[34:35], v[71:72], v[30:31]
	v_fma_f64 v[63:64], v[20:21], v[75:76], -v[73:74]
	s_waitcnt vmcnt(10)
	v_mul_f64 v[20:21], v[53:54], v[114:115]
	v_mul_f64 v[65:66], v[22:23], v[114:115]
	s_waitcnt vmcnt(9) lgkmcnt(0)
	v_mul_f64 v[71:72], v[24:25], v[118:119]
	v_fma_f64 v[51:52], v[51:52], v[75:76], v[28:29]
	v_mul_f64 v[73:74], v[16:17], v[118:119]
	s_waitcnt vmcnt(8)
	v_mul_f64 v[75:76], v[26:27], v[122:123]
	ds_read2_b64 v[28:31], v106 offset0:64 offset1:208
	v_mul_f64 v[77:78], v[18:19], v[122:123]
	v_fma_f64 v[114:115], v[22:23], v[112:113], -v[20:21]
	v_fma_f64 v[53:54], v[53:54], v[112:113], v[65:66]
	v_fma_f64 v[65:66], v[16:17], v[116:117], -v[71:72]
	s_waitcnt vmcnt(7) lgkmcnt(0)
	v_mul_f64 v[20:21], v[28:29], v[126:127]
	v_mul_f64 v[22:23], v[12:13], v[126:127]
	v_fma_f64 v[71:72], v[24:25], v[116:117], v[73:74]
	v_fma_f64 v[24:25], v[18:19], v[120:121], -v[75:76]
	ds_read2_b64 v[16:19], v109 offset0:32 offset1:176
	v_fma_f64 v[73:74], v[26:27], v[120:121], v[77:78]
	s_waitcnt vmcnt(6)
	v_mul_f64 v[26:27], v[30:31], v[130:131]
	v_mul_f64 v[75:76], v[14:15], v[130:131]
	s_waitcnt vmcnt(5)
	v_mul_f64 v[112:113], v[8:9], v[134:135]
	s_waitcnt vmcnt(4) lgkmcnt(0)
	v_mul_f64 v[116:117], v[18:19], v[138:139]
	v_fma_f64 v[12:13], v[12:13], v[124:125], -v[20:21]
	v_fma_f64 v[28:29], v[28:29], v[124:125], v[22:23]
	ds_read2_b64 v[20:23], v110 offset1:144
	v_mul_f64 v[77:78], v[16:17], v[134:135]
	v_fma_f64 v[14:15], v[14:15], v[128:129], -v[26:27]
	v_fma_f64 v[26:27], v[30:31], v[128:129], v[75:76]
	v_mul_f64 v[30:31], v[10:11], v[138:139]
	s_waitcnt vmcnt(3) lgkmcnt(0)
	v_mul_f64 v[75:76], v[20:21], v[142:143]
	v_mul_f64 v[118:119], v[4:5], v[142:143]
	v_fma_f64 v[112:113], v[16:17], v[132:133], v[112:113]
	v_fma_f64 v[16:17], v[10:11], v[136:137], -v[116:117]
	v_add_f64 v[116:117], v[82:83], -v[150:151]
	v_add_f64 v[69:70], v[79:80], -v[69:70]
	v_fma_f64 v[77:78], v[8:9], v[132:133], -v[77:78]
	v_fma_f64 v[120:121], v[18:19], v[136:137], v[30:31]
	v_fma_f64 v[4:5], v[4:5], v[140:141], -v[75:76]
	v_fma_f64 v[75:76], v[20:21], v[140:141], v[118:119]
	s_waitcnt vmcnt(2)
	v_mul_f64 v[18:19], v[22:23], v[146:147]
	v_mul_f64 v[20:21], v[6:7], v[146:147]
	v_fma_f64 v[30:31], v[82:83], 2.0, -v[116:117]
	v_fma_f64 v[79:80], v[79:80], 2.0, -v[69:70]
	ds_read2_b64 v[8:11], v111 offset0:96 offset1:240
	v_add_f64 v[32:33], v[148:149], -v[32:33]
	s_waitcnt vmcnt(0)
	v_mul_f64 v[124:125], v[2:3], v[158:159]
	v_add_f64 v[65:66], v[44:45], -v[65:66]
	v_fma_f64 v[6:7], v[6:7], v[144:145], -v[18:19]
	s_waitcnt lgkmcnt(0)
	v_mul_f64 v[122:123], v[10:11], v[158:159]
	v_fma_f64 v[126:127], v[22:23], v[144:145], v[20:21]
	v_add_f64 v[18:19], v[30:31], -v[79:80]
	v_add_f64 v[22:23], v[46:47], -v[57:58]
	;; [unrolled: 1-line block ×4, first 2 shown]
	v_fma_f64 v[10:11], v[10:11], v[156:157], v[124:125]
	v_add_f64 v[124:125], v[63:64], -v[12:13]
	v_fma_f64 v[2:3], v[2:3], v[156:157], -v[122:123]
	v_add_f64 v[34:35], v[55:56], -v[34:35]
	v_mul_f64 v[81:82], v[8:9], v[154:155]
	v_fma_f64 v[46:47], v[46:47], 2.0, -v[22:23]
	v_fma_f64 v[122:123], v[164:165], 2.0, -v[79:80]
	v_mul_f64 v[118:119], v[0:1], v[154:155]
	v_fma_f64 v[30:31], v[30:31], 2.0, -v[18:19]
	v_fma_f64 v[57:58], v[116:117], 2.0, -v[20:21]
	;; [unrolled: 1-line block ×4, first 2 shown]
	v_add_f64 v[130:131], v[51:52], -v[28:29]
	v_add_f64 v[28:29], v[22:23], -v[34:35]
	;; [unrolled: 1-line block ×3, first 2 shown]
	v_fma_f64 v[0:1], v[0:1], v[152:153], -v[81:82]
	v_fma_f64 v[8:9], v[8:9], v[152:153], v[118:119]
	ds_read_b64 v[81:82], v90
	ds_read_b64 v[116:117], v91
	;; [unrolled: 1-line block ×6, first 2 shown]
	s_waitcnt lgkmcnt(0)
	s_barrier
	ds_write2_b64 v87, v[30:31], v[57:58] offset1:216
	v_add_u32_e32 v57, 0xd00, v87
	ds_write2_b64 v57, v[18:19], v[20:21] offset0:16 offset1:232
	v_fma_f64 v[18:19], v[46:47], 2.0, -v[122:123]
	v_add_f64 v[20:21], v[44:45], -v[63:64]
	v_add_f64 v[30:31], v[65:66], -v[130:131]
	v_fma_f64 v[22:23], v[22:23], 2.0, -v[28:29]
	v_mov_b32_e32 v46, 0x1b00
	v_cndmask_b32_e64 v46, 0, v46, s[0:1]
	v_lshlrev_b32_e32 v47, 3, v50
	v_add3_u32 v50, 0, v46, v47
	v_add_f64 v[132:133], v[114:115], -v[14:15]
	v_fma_f64 v[44:45], v[44:45], 2.0, -v[20:21]
	v_fma_f64 v[46:47], v[65:66], 2.0, -v[30:31]
	ds_write2_b64 v50, v[18:19], v[22:23] offset1:216
	v_add_f64 v[18:19], v[40:41], -v[24:25]
	v_lshl_add_u32 v14, v100, 3, 0
	v_add_u32_e32 v83, 0xd00, v50
	v_add_u32_e32 v138, 0x1d00, v14
	ds_write2_b64 v83, v[122:123], v[28:29] offset0:16 offset1:232
	v_add_u32_e32 v139, 0x2a00, v14
	ds_write2_b64 v138, v[44:45], v[46:47] offset0:8 offset1:224
	v_fma_f64 v[22:23], v[114:115], 2.0, -v[132:133]
	v_fma_f64 v[14:15], v[40:41], 2.0, -v[18:19]
	v_add_f64 v[44:45], v[53:54], -v[26:27]
	v_add_f64 v[4:5], v[36:37], -v[4:5]
	;; [unrolled: 1-line block ×5, first 2 shown]
	ds_write2_b64 v139, v[20:21], v[30:31] offset0:24 offset1:240
	v_add_f64 v[46:47], v[61:62], -v[59:60]
	v_add_f64 v[2:3], v[14:15], -v[22:23]
	;; [unrolled: 1-line block ×3, first 2 shown]
	v_fma_f64 v[20:21], v[36:37], 2.0, -v[4:5]
	v_fma_f64 v[22:23], v[77:78], 2.0, -v[114:115]
	v_add_f64 v[77:78], v[112:113], -v[8:9]
	v_fma_f64 v[8:9], v[42:43], 2.0, -v[0:1]
	v_fma_f64 v[16:17], v[16:17], 2.0, -v[122:123]
	v_add_f64 v[42:43], v[120:121], -v[10:11]
	;; [unrolled: 3-line block ×3, first 2 shown]
	v_add_f64 v[22:23], v[20:21], -v[22:23]
	v_add_f64 v[24:25], v[4:5], -v[77:78]
	v_fma_f64 v[134:135], v[61:62], 2.0, -v[46:47]
	v_add_f64 v[16:17], v[8:9], -v[16:17]
	v_add_f64 v[26:27], v[0:1], -v[42:43]
	v_fma_f64 v[18:19], v[148:149], 2.0, -v[32:33]
	v_lshl_add_u32 v28, v38, 3, 0
	v_add_u32_e32 v38, 0x3600, v28
	ds_write2_b64 v38, v[10:11], v[14:15] offset1:216
	v_fma_f64 v[10:11], v[20:21], 2.0, -v[22:23]
	v_fma_f64 v[4:5], v[4:5], 2.0, -v[24:25]
	;; [unrolled: 1-line block ×6, first 2 shown]
	v_add_u32_e32 v140, 0x4300, v28
	ds_write2_b64 v140, v[2:3], v[6:7] offset0:16 offset1:232
	v_mul_u32_u24_e32 v2, 0x1b00, v168
	v_lshlrev_b32_e32 v3, 3, v169
	v_add_f64 v[136:137], v[134:135], -v[18:19]
	v_add_f64 v[69:70], v[46:47], v[69:70]
	v_add3_u32 v141, 0, v2, v3
	v_lshl_add_u32 v2, v170, 3, 0
	v_add_u32_e32 v142, 0xd00, v141
	v_add_u32_e32 v143, 0x5000, v2
	;; [unrolled: 1-line block ×3, first 2 shown]
	ds_write2_b64 v141, v[10:11], v[4:5] offset1:216
	ds_write2_b64 v142, v[22:23], v[24:25] offset0:16 offset1:232
	ds_write2_b64 v143, v[8:9], v[0:1] offset0:32 offset1:248
	;; [unrolled: 1-line block ×3, first 2 shown]
	s_waitcnt lgkmcnt(0)
	s_barrier
	ds_read2_b64 v[8:11], v92 offset0:96 offset1:240
	ds_read2_b64 v[0:3], v93 offset0:64 offset1:208
	;; [unrolled: 1-line block ×3, first 2 shown]
	ds_read_b64 v[62:63], v90
	ds_read_b64 v[64:65], v91
	;; [unrolled: 1-line block ×6, first 2 shown]
	ds_read2_b64 v[24:27], v95 offset1:144
	ds_read2_b64 v[32:35], v107 offset0:96 offset1:240
	ds_read2_b64 v[28:31], v106 offset0:64 offset1:208
	v_add_f64 v[89:90], v[55:56], -v[14:15]
	v_add_f64 v[79:80], v[66:67], v[79:80]
	v_fma_f64 v[134:135], v[134:135], 2.0, -v[136:137]
	v_fma_f64 v[46:47], v[46:47], 2.0, -v[69:70]
	v_add_f64 v[71:72], v[81:82], -v[71:72]
	ds_read2_b64 v[12:15], v109 offset0:32 offset1:176
	ds_read2_b64 v[16:19], v110 offset1:144
	ds_read2_b64 v[20:23], v111 offset0:96 offset1:240
	s_waitcnt lgkmcnt(0)
	s_barrier
	v_fma_f64 v[55:56], v[55:56], 2.0, -v[89:90]
	v_fma_f64 v[66:67], v[66:67], 2.0, -v[79:80]
	ds_write2_b64 v57, v[136:137], v[69:70] offset0:16 offset1:232
	v_add_f64 v[68:69], v[116:117], -v[73:74]
	ds_write2_b64 v87, v[134:135], v[46:47] offset1:216
	v_add_f64 v[46:47], v[118:119], -v[75:76]
	v_fma_f64 v[44:45], v[53:54], 2.0, -v[44:45]
	v_fma_f64 v[73:74], v[112:113], 2.0, -v[77:78]
	ds_write2_b64 v50, v[55:56], v[66:67] offset1:216
	v_add_f64 v[55:56], v[128:129], -v[126:127]
	v_fma_f64 v[50:51], v[51:52], 2.0, -v[130:131]
	v_fma_f64 v[66:67], v[81:82], 2.0, -v[71:72]
	v_fma_f64 v[52:53], v[116:117], 2.0, -v[68:69]
	v_fma_f64 v[75:76], v[118:119], 2.0, -v[46:47]
	v_fma_f64 v[42:43], v[120:121], 2.0, -v[42:43]
	ds_write2_b64 v83, v[89:90], v[79:80] offset0:16 offset1:232
	v_add_f64 v[79:80], v[71:72], v[124:125]
	v_fma_f64 v[77:78], v[128:129], 2.0, -v[55:56]
	v_add_f64 v[81:82], v[68:69], v[132:133]
	v_add_f64 v[50:51], v[66:67], -v[50:51]
	v_add_f64 v[44:45], v[52:53], -v[44:45]
	;; [unrolled: 1-line block ×3, first 2 shown]
	v_add_f64 v[89:90], v[46:47], v[114:115]
	v_add_f64 v[112:113], v[55:56], v[122:123]
	v_fma_f64 v[70:71], v[71:72], 2.0, -v[79:80]
	v_add_f64 v[42:43], v[77:78], -v[42:43]
	v_fma_f64 v[68:69], v[68:69], 2.0, -v[81:82]
	v_fma_f64 v[66:67], v[66:67], 2.0, -v[50:51]
	;; [unrolled: 1-line block ×6, first 2 shown]
	s_movk_i32 s0, 0x3000
	v_fma_f64 v[77:78], v[77:78], 2.0, -v[42:43]
	ds_write2_b64 v138, v[66:67], v[70:71] offset0:8 offset1:224
	ds_write2_b64 v139, v[50:51], v[79:80] offset0:24 offset1:240
	ds_write2_b64 v38, v[52:53], v[68:69] offset1:216
	ds_write2_b64 v140, v[44:45], v[81:82] offset0:16 offset1:232
	ds_write2_b64 v141, v[75:76], v[46:47] offset1:216
	ds_write2_b64 v142, v[73:74], v[89:90] offset0:16 offset1:232
	ds_write2_b64 v143, v[77:78], v[54:55] offset0:32 offset1:248
	ds_write2_b64 v144, v[42:43], v[112:113] offset0:16 offset1:232
	s_waitcnt lgkmcnt(0)
	s_barrier
	s_and_saveexec_b64 s[6:7], vcc
	s_cbranch_execz .LBB0_15
; %bb.14:
	v_mul_i32_i24_e32 v38, 3, v104
	v_lshlrev_b64 v[43:44], 4, v[38:39]
	v_mov_b32_e32 v42, s13
	v_add_co_u32_e32 v38, vcc, s12, v43
	v_addc_co_u32_e32 v43, vcc, v42, v44, vcc
	s_movk_i32 s1, 0x35a0
	v_add_co_u32_e32 v66, vcc, s1, v38
	v_addc_co_u32_e32 v67, vcc, 0, v43, vcc
	v_add_co_u32_e32 v68, vcc, s0, v38
	v_addc_co_u32_e32 v69, vcc, 0, v43, vcc
	global_load_dwordx4 v[43:46], v[68:69], off offset:1440
	global_load_dwordx4 v[50:53], v[66:67], off offset:32
	;; [unrolled: 1-line block ×3, first 2 shown]
	v_mul_i32_i24_e32 v38, 3, v103
	v_lshlrev_b64 v[66:67], 4, v[38:39]
	v_mul_lo_u32 v90, s5, v98
	v_add_co_u32_e32 v38, vcc, s12, v66
	v_addc_co_u32_e32 v47, vcc, v42, v67, vcc
	v_add_co_u32_e32 v66, vcc, s1, v38
	v_addc_co_u32_e32 v67, vcc, 0, v47, vcc
	;; [unrolled: 2-line block ×3, first 2 shown]
	global_load_dwordx4 v[68:71], v[66:67], off offset:16
	global_load_dwordx4 v[72:75], v[80:81], off offset:1440
	;; [unrolled: 1-line block ×3, first 2 shown]
	v_mul_i32_i24_e32 v38, 3, v105
	v_lshlrev_b64 v[66:67], 4, v[38:39]
	v_mul_lo_u32 v103, s4, v99
	v_add_co_u32_e32 v47, vcc, s12, v66
	v_addc_co_u32_e32 v89, vcc, v42, v67, vcc
	v_add_co_u32_e32 v66, vcc, s1, v47
	v_addc_co_u32_e32 v67, vcc, 0, v89, vcc
	global_load_dwordx4 v[80:83], v[66:67], off offset:32
	global_load_dwordx4 v[112:115], v[66:67], off offset:16
	v_mad_u64_u32 v[66:67], s[4:5], s4, v98, 0
	ds_read2_b64 v[116:119], v110 offset1:144
	ds_read2_b64 v[120:123], v109 offset0:32 offset1:176
	ds_read2_b64 v[124:127], v111 offset0:96 offset1:240
	;; [unrolled: 1-line block ×3, first 2 shown]
	ds_read_b64 v[98:99], v108
	ds_read_b64 v[136:137], v88
	;; [unrolled: 1-line block ×3, first 2 shown]
	v_add_co_u32_e32 v87, vcc, s0, v47
	v_addc_co_u32_e32 v88, vcc, 0, v89, vcc
	v_add3_u32 v67, v67, v103, v90
	global_load_dwordx4 v[87:90], v[87:88], off offset:1440
	v_mul_i32_i24_e32 v38, 3, v102
	v_mul_i32_i24_e32 v149, 0xffffffd8, v102
	v_lshlrev_b64 v[102:103], 4, v[38:39]
	v_mul_i32_i24_e32 v91, 0xffffffd8, v105
	v_add_co_u32_e32 v38, vcc, s12, v102
	v_addc_co_u32_e32 v47, vcc, v42, v103, vcc
	v_add_co_u32_e32 v132, vcc, s1, v38
	v_addc_co_u32_e32 v133, vcc, 0, v47, vcc
	;; [unrolled: 2-line block ×3, first 2 shown]
	global_load_dwordx4 v[102:105], v[102:103], off offset:1440
	s_nop 0
	global_load_dwordx4 v[107:110], v[132:133], off offset:32
	s_nop 0
	global_load_dwordx4 v[132:135], v[132:133], off offset:16
	v_mul_i32_i24_e32 v38, 3, v101
	v_lshlrev_b64 v[38:39], 4, v[38:39]
	v_add_u32_e32 v85, v85, v149
	v_add_co_u32_e32 v47, vcc, s12, v38
	v_addc_co_u32_e32 v42, vcc, v42, v39, vcc
	v_add_co_u32_e32 v38, vcc, s1, v47
	v_addc_co_u32_e32 v39, vcc, 0, v42, vcc
	v_mul_i32_i24_e32 v148, 0xffffffd8, v101
	v_add_u32_e32 v84, v84, v148
	s_waitcnt vmcnt(11) lgkmcnt(5)
	v_mul_f64 v[140:141], v[43:44], v[122:123]
	s_waitcnt vmcnt(10) lgkmcnt(4)
	v_mul_f64 v[144:145], v[50:51], v[126:127]
	s_waitcnt vmcnt(9)
	v_mul_f64 v[142:143], v[54:55], v[118:119]
	v_mul_f64 v[122:123], v[45:46], v[122:123]
	;; [unrolled: 1-line block ×4, first 2 shown]
	v_fma_f64 v[45:46], v[14:15], v[45:46], v[140:141]
	v_fma_f64 v[52:53], v[22:23], v[52:53], v[144:145]
	v_fma_f64 v[56:57], v[18:19], v[56:57], v[142:143]
	v_fma_f64 v[43:44], v[14:15], v[43:44], -v[122:123]
	v_fma_f64 v[14:15], v[22:23], v[50:51], -v[126:127]
	;; [unrolled: 1-line block ×3, first 2 shown]
	s_waitcnt vmcnt(8)
	v_mul_f64 v[140:141], v[68:69], v[116:117]
	s_waitcnt vmcnt(7)
	v_mul_f64 v[142:143], v[74:75], v[120:121]
	;; [unrolled: 2-line block ×3, first 2 shown]
	s_waitcnt lgkmcnt(2)
	v_add_f64 v[50:51], v[98:99], -v[56:57]
	v_add_f64 v[52:53], v[45:46], -v[52:53]
	;; [unrolled: 1-line block ×3, first 2 shown]
	v_mul_f64 v[56:57], v[72:73], v[120:121]
	v_add_f64 v[120:121], v[36:37], -v[18:19]
	v_mul_f64 v[54:55], v[70:71], v[116:117]
	v_mul_f64 v[116:117], v[76:77], v[124:125]
	v_fma_f64 v[22:23], v[20:21], v[76:77], -v[22:23]
	v_fma_f64 v[70:71], v[16:17], v[70:71], v[140:141]
	v_fma_f64 v[18:19], v[45:46], 2.0, -v[52:53]
	v_fma_f64 v[45:46], v[12:13], v[72:73], -v[142:143]
	v_add_f64 v[14:15], v[50:51], v[118:119]
	v_fma_f64 v[98:99], v[98:99], 2.0, -v[50:51]
	v_fma_f64 v[56:57], v[12:13], v[74:75], v[56:57]
	v_add_f64 v[12:13], v[120:121], -v[52:53]
	v_fma_f64 v[54:55], v[16:17], v[68:69], -v[54:55]
	v_add_co_u32_e32 v76, vcc, s0, v47
	v_add_f64 v[126:127], v[45:46], -v[22:23]
	v_fma_f64 v[22:23], v[50:51], 2.0, -v[14:15]
	s_waitcnt vmcnt(4)
	v_mul_f64 v[50:51], v[112:113], v[130:131]
	v_addc_co_u32_e32 v77, vcc, 0, v42, vcc
	v_fma_f64 v[52:53], v[36:37], 2.0, -v[120:121]
	v_fma_f64 v[36:37], v[43:44], 2.0, -v[118:119]
	v_add_f64 v[18:19], v[98:99], -v[18:19]
	v_fma_f64 v[43:44], v[20:21], v[78:79], v[116:117]
	s_waitcnt lgkmcnt(1)
	v_add_f64 v[124:125], v[136:137], -v[70:71]
	global_load_dwordx4 v[68:71], v[38:39], off offset:32
	global_load_dwordx4 v[72:75], v[38:39], off offset:16
	s_nop 0
	global_load_dwordx4 v[76:79], v[76:77], off offset:1440
	v_fma_f64 v[38:39], v[34:35], v[114:115], v[50:51]
	v_add_u32_e32 v42, v86, v91
	v_fma_f64 v[20:21], v[120:121], 2.0, -v[12:13]
	ds_read2_b64 v[116:119], v95 offset1:144
	ds_read2_b64 v[120:123], v106 offset0:64 offset1:208
	ds_read_b64 v[140:141], v42
	v_add_f64 v[54:55], v[40:41], -v[54:55]
	v_add_f64 v[16:17], v[52:53], -v[36:37]
	v_fma_f64 v[36:37], v[98:99], 2.0, -v[18:19]
	v_fma_f64 v[98:99], v[136:137], 2.0, -v[124:125]
	s_waitcnt vmcnt(6) lgkmcnt(2)
	v_mul_f64 v[50:51], v[89:90], v[118:119]
	s_waitcnt lgkmcnt(1)
	v_mul_f64 v[136:137], v[82:83], v[122:123]
	v_mul_f64 v[118:119], v[87:88], v[118:119]
	;; [unrolled: 1-line block ×3, first 2 shown]
	s_waitcnt lgkmcnt(0)
	v_add_f64 v[144:145], v[140:141], -v[38:39]
	v_mul_f64 v[38:39], v[114:115], v[130:131]
	v_fma_f64 v[142:143], v[40:41], 2.0, -v[54:55]
	v_add_co_u32_e32 v40, vcc, s1, v48
	v_addc_co_u32_e32 v41, vcc, 0, v49, vcc
	v_add_co_u32_e32 v48, vcc, s0, v48
	v_fma_f64 v[146:147], v[26:27], v[87:88], -v[50:51]
	v_fma_f64 v[50:51], v[30:31], v[80:81], -v[136:137]
	v_fma_f64 v[26:27], v[26:27], v[89:90], v[118:119]
	v_fma_f64 v[30:31], v[30:31], v[82:83], v[122:123]
	v_addc_co_u32_e32 v49, vcc, 0, v49, vcc
	global_load_dwordx4 v[80:83], v[40:41], off offset:16
	global_load_dwordx4 v[86:89], v[48:49], off offset:1440
	v_fma_f64 v[34:35], v[34:35], v[112:113], -v[38:39]
	global_load_dwordx4 v[111:114], v[40:41], off offset:32
	v_add_f64 v[43:44], v[56:57], -v[43:44]
	v_fma_f64 v[46:47], v[45:46], 2.0, -v[126:127]
	v_add_f64 v[30:31], v[26:27], -v[30:31]
	v_add_f64 v[40:41], v[124:125], v[126:127]
	v_add_f64 v[90:91], v[146:147], -v[50:51]
	v_fma_f64 v[122:123], v[140:141], 2.0, -v[144:145]
	v_add_f64 v[118:119], v[64:65], -v[34:35]
	v_fma_f64 v[34:35], v[52:53], 2.0, -v[16:17]
	v_fma_f64 v[56:57], v[56:57], 2.0, -v[43:44]
	v_add_f64 v[38:39], v[54:55], -v[43:44]
	v_add_f64 v[42:43], v[142:143], -v[46:47]
	v_fma_f64 v[26:27], v[26:27], 2.0, -v[30:31]
	v_fma_f64 v[48:49], v[124:125], 2.0, -v[40:41]
	s_waitcnt vmcnt(7)
	v_mul_f64 v[124:125], v[109:110], v[120:121]
	v_mul_f64 v[120:121], v[107:108], v[120:121]
	s_waitcnt vmcnt(6)
	v_mul_f64 v[126:127], v[134:135], v[128:129]
	v_add_f64 v[44:45], v[98:99], -v[56:57]
	v_fma_f64 v[46:47], v[54:55], 2.0, -v[38:39]
	v_add_f64 v[54:55], v[118:119], -v[30:31]
	v_mul_f64 v[30:31], v[132:133], v[128:129]
	v_add_f64 v[56:57], v[144:145], v[90:91]
	v_fma_f64 v[90:91], v[146:147], 2.0, -v[90:91]
	v_add_f64 v[26:27], v[122:123], -v[26:27]
	s_mov_b32 s0, 0x97b425f
	v_fma_f64 v[52:53], v[98:99], 2.0, -v[44:45]
	v_fma_f64 v[98:99], v[64:65], 2.0, -v[118:119]
	v_mul_f64 v[64:65], v[104:105], v[116:117]
	v_mul_f64 v[115:116], v[102:103], v[116:117]
	v_fma_f64 v[128:129], v[32:33], v[134:135], v[30:31]
	v_fma_f64 v[32:33], v[32:33], v[132:133], -v[126:127]
	s_movk_i32 s1, 0xd80
	v_fma_f64 v[30:31], v[144:145], 2.0, -v[56:57]
	v_fma_f64 v[50:51], v[142:143], 2.0, -v[42:43]
	v_fma_f64 v[130:131], v[24:25], v[102:103], -v[64:65]
	v_fma_f64 v[64:65], v[28:29], v[107:108], -v[124:125]
	ds_read_b64 v[124:125], v85
	v_fma_f64 v[115:116], v[24:25], v[104:105], v[115:116]
	v_fma_f64 v[101:102], v[28:29], v[109:110], v[120:121]
	v_fma_f64 v[28:29], v[118:119], 2.0, -v[54:55]
	v_add_f64 v[24:25], v[98:99], -v[90:91]
	s_waitcnt lgkmcnt(0)
	v_add_f64 v[109:110], v[124:125], -v[128:129]
	v_add_f64 v[32:33], v[62:63], -v[32:33]
	;; [unrolled: 1-line block ×3, first 2 shown]
	v_fma_f64 v[64:65], v[122:123], 2.0, -v[26:27]
	v_add_f64 v[119:120], v[115:116], -v[101:102]
	ds_read2_b64 v[101:104], v93 offset0:64 offset1:208
	ds_read2_b64 v[90:93], v92 offset0:96 offset1:240
	;; [unrolled: 1-line block ×3, first 2 shown]
	ds_read_b64 v[84:85], v84
	v_fma_f64 v[121:122], v[124:125], 2.0, -v[109:110]
	s_waitcnt vmcnt(4) lgkmcnt(3)
	v_mul_f64 v[123:124], v[72:73], v[103:104]
	s_waitcnt vmcnt(3) lgkmcnt(2)
	v_mul_f64 v[125:126], v[78:79], v[92:93]
	s_waitcnt lgkmcnt(1)
	v_mul_f64 v[127:128], v[70:71], v[107:108]
	v_mul_f64 v[103:104], v[74:75], v[103:104]
	v_add_f64 v[94:95], v[109:110], v[117:118]
	v_fma_f64 v[132:133], v[62:63], 2.0, -v[32:33]
	v_fma_f64 v[62:63], v[130:131], 2.0, -v[117:118]
	;; [unrolled: 1-line block ×3, first 2 shown]
	v_fma_f64 v[117:118], v[2:3], v[74:75], v[123:124]
	v_fma_f64 v[123:124], v[10:11], v[76:77], -v[125:126]
	v_fma_f64 v[125:126], v[6:7], v[68:69], -v[127:128]
	v_mul_f64 v[127:128], v[76:77], v[92:93]
	v_mul_f64 v[68:69], v[68:69], v[107:108]
	v_add_f64 v[92:93], v[32:33], -v[119:120]
	v_fma_f64 v[72:73], v[2:3], v[72:73], -v[103:104]
	v_add_f64 v[74:75], v[132:133], -v[62:63]
	v_fma_f64 v[62:63], v[98:99], 2.0, -v[24:25]
	v_add_f64 v[76:77], v[121:122], -v[115:116]
	s_waitcnt lgkmcnt(0)
	v_add_f64 v[115:116], v[84:85], -v[117:118]
	v_fma_f64 v[10:11], v[10:11], v[78:79], v[127:128]
	v_fma_f64 v[6:7], v[6:7], v[70:71], v[68:69]
	v_fma_f64 v[68:69], v[32:33], 2.0, -v[92:93]
	v_add_f64 v[32:33], v[60:61], -v[72:73]
	v_add_f64 v[117:118], v[123:124], -v[125:126]
	v_fma_f64 v[70:71], v[109:110], 2.0, -v[94:95]
	v_fma_f64 v[109:110], v[121:122], 2.0, -v[76:77]
	s_waitcnt vmcnt(2)
	v_mul_f64 v[72:73], v[80:81], v[101:102]
	s_waitcnt vmcnt(1)
	v_mul_f64 v[78:79], v[88:89], v[90:91]
	v_mul_f64 v[90:91], v[86:87], v[90:91]
	s_waitcnt vmcnt(0)
	v_mul_f64 v[98:99], v[111:112], v[105:106]
	v_mul_f64 v[101:102], v[82:83], v[101:102]
	;; [unrolled: 1-line block ×3, first 2 shown]
	v_add_f64 v[6:7], v[10:11], -v[6:7]
	v_fma_f64 v[84:85], v[84:85], 2.0, -v[115:116]
	v_fma_f64 v[72:73], v[0:1], v[82:83], v[72:73]
	v_fma_f64 v[78:79], v[8:9], v[86:87], -v[78:79]
	v_fma_f64 v[82:83], v[8:9], v[88:89], v[90:91]
	v_fma_f64 v[8:9], v[4:5], v[113:114], v[98:99]
	v_fma_f64 v[80:81], v[0:1], v[80:81], -v[101:102]
	v_fma_f64 v[4:5], v[4:5], v[111:112], -v[103:104]
	v_fma_f64 v[10:11], v[10:11], 2.0, -v[6:7]
	v_add_f64 v[0:1], v[32:33], -v[6:7]
	v_add_f64 v[72:73], v[138:139], -v[72:73]
	v_fma_f64 v[86:87], v[60:61], 2.0, -v[32:33]
	v_fma_f64 v[88:89], v[123:124], 2.0, -v[117:118]
	v_add_f64 v[90:91], v[82:83], -v[8:9]
	v_add_f64 v[98:99], v[58:59], -v[80:81]
	;; [unrolled: 1-line block ×4, first 2 shown]
	v_fma_f64 v[8:9], v[32:33], 2.0, -v[0:1]
	v_fma_f64 v[32:33], v[138:139], 2.0, -v[72:73]
	v_add_f64 v[2:3], v[115:116], v[117:118]
	v_add_f64 v[4:5], v[86:87], -v[88:89]
	v_fma_f64 v[82:83], v[82:83], 2.0, -v[90:91]
	v_fma_f64 v[101:102], v[58:59], 2.0, -v[98:99]
	;; [unrolled: 1-line block ×3, first 2 shown]
	v_lshrrev_b32_e32 v78, 5, v100
	v_mul_hi_u32 v88, v78, s0
	v_fma_f64 v[60:61], v[84:85], 2.0, -v[6:7]
	v_add_f64 v[80:81], v[72:73], v[80:81]
	v_add_f64 v[78:79], v[98:99], -v[90:91]
	v_add_f64 v[84:85], v[32:33], -v[82:83]
	v_mul_u32_u24_e32 v82, 0x360, v88
	v_sub_u32_e32 v105, v100, v82
	v_mad_u64_u32 v[90:91], s[4:5], s2, v105, 0
	v_add_f64 v[82:83], v[101:102], -v[58:59]
	v_fma_f64 v[88:89], v[72:73], 2.0, -v[80:81]
	v_mov_b32_e32 v72, v91
	v_fma_f64 v[103:104], v[32:33], 2.0, -v[84:85]
	v_lshlrev_b64 v[32:33], 4, v[66:67]
	v_mad_u64_u32 v[72:73], s[4:5], s3, v105, v[72:73]
	v_mov_b32_e32 v66, s11
	v_add_co_u32_e32 v67, vcc, s10, v32
	v_addc_co_u32_e32 v66, vcc, v66, v33, vcc
	v_lshlrev_b64 v[32:33], 4, v[96:97]
	v_mov_b32_e32 v91, v72
	v_add_co_u32_e32 v96, vcc, v67, v32
	v_add_u32_e32 v72, 0x360, v105
	v_addc_co_u32_e32 v97, vcc, v66, v33, vcc
	v_mad_u64_u32 v[66:67], s[4:5], s2, v72, 0
	v_fma_f64 v[101:102], v[101:102], 2.0, -v[82:83]
	v_fma_f64 v[58:59], v[86:87], 2.0, -v[4:5]
	v_mad_u64_u32 v[72:73], s[4:5], s3, v72, v[67:68]
	v_fma_f64 v[86:87], v[98:99], 2.0, -v[78:79]
	v_lshlrev_b64 v[32:33], 4, v[90:91]
	v_add_u32_e32 v73, 0x6c0, v105
	v_mad_u64_u32 v[90:91], s[4:5], s2, v73, 0
	v_add_co_u32_e32 v32, vcc, v96, v32
	v_addc_co_u32_e32 v33, vcc, v97, v33, vcc
	v_mov_b32_e32 v67, v72
	global_store_dwordx4 v[32:33], v[101:104], off
	v_lshlrev_b64 v[32:33], 4, v[66:67]
	v_mov_b32_e32 v66, v91
	v_mad_u64_u32 v[66:67], s[4:5], s3, v73, v[66:67]
	v_add_co_u32_e32 v32, vcc, v96, v32
	v_addc_co_u32_e32 v33, vcc, v97, v33, vcc
	global_store_dwordx4 v[32:33], v[86:89], off
	v_add_u32_e32 v72, 0xa20, v105
	v_add_u32_e32 v86, 0x90, v100
	v_lshrrev_b32_e32 v73, 5, v86
	v_mov_b32_e32 v91, v66
	v_mad_u64_u32 v[66:67], s[4:5], s2, v72, 0
	v_mul_hi_u32 v87, v73, s0
	v_lshlrev_b64 v[32:33], 4, v[90:91]
	v_mad_u64_u32 v[72:73], s[4:5], s3, v72, v[67:68]
	v_mul_u32_u24_e32 v67, 0x360, v87
	v_sub_u32_e32 v67, v86, v67
	v_mad_u32_u24 v88, v87, s1, v67
	v_mad_u64_u32 v[86:87], s[4:5], s2, v88, 0
	v_add_co_u32_e32 v32, vcc, v96, v32
	v_addc_co_u32_e32 v33, vcc, v97, v33, vcc
	v_mov_b32_e32 v67, v72
	global_store_dwordx4 v[32:33], v[82:85], off
	v_lshlrev_b64 v[32:33], 4, v[66:67]
	v_mov_b32_e32 v66, v87
	v_mad_u64_u32 v[66:67], s[4:5], s3, v88, v[66:67]
	v_add_u32_e32 v72, 0x360, v88
	v_add_co_u32_e32 v32, vcc, v96, v32
	v_mov_b32_e32 v87, v66
	v_mad_u64_u32 v[66:67], s[4:5], s2, v72, 0
	v_addc_co_u32_e32 v33, vcc, v97, v33, vcc
	v_mad_u64_u32 v[72:73], s[4:5], s3, v72, v[67:68]
	v_add_u32_e32 v73, 0x6c0, v88
	v_fma_f64 v[10:11], v[115:116], 2.0, -v[2:3]
	global_store_dwordx4 v[32:33], v[78:81], off
	v_lshlrev_b64 v[32:33], 4, v[86:87]
	v_mad_u64_u32 v[78:79], s[4:5], s2, v73, 0
	v_add_co_u32_e32 v32, vcc, v96, v32
	v_addc_co_u32_e32 v33, vcc, v97, v33, vcc
	v_mov_b32_e32 v67, v72
	global_store_dwordx4 v[32:33], v[58:61], off
	v_lshlrev_b64 v[32:33], 4, v[66:67]
	v_mov_b32_e32 v58, v79
	v_mad_u64_u32 v[58:59], s[4:5], s3, v73, v[58:59]
	v_add_co_u32_e32 v32, vcc, v96, v32
	v_addc_co_u32_e32 v33, vcc, v97, v33, vcc
	global_store_dwordx4 v[32:33], v[8:11], off
	v_add_u32_e32 v32, 0xa20, v88
	v_mov_b32_e32 v79, v58
	v_mad_u64_u32 v[10:11], s[4:5], s2, v32, 0
	v_add_u32_e32 v58, 0x120, v100
	v_lshrrev_b32_e32 v33, 5, v58
	v_mul_hi_u32 v59, v33, s0
	v_mad_u64_u32 v[32:33], s[4:5], s3, v32, v[11:12]
	v_lshlrev_b64 v[8:9], 4, v[78:79]
	v_mul_u32_u24_e32 v11, 0x360, v59
	v_add_co_u32_e32 v8, vcc, v96, v8
	v_sub_u32_e32 v11, v58, v11
	v_addc_co_u32_e32 v9, vcc, v97, v9, vcc
	v_mad_u32_u24 v33, v59, s1, v11
	v_mov_b32_e32 v11, v32
	v_mad_u64_u32 v[58:59], s[4:5], s2, v33, 0
	global_store_dwordx4 v[8:9], v[4:7], off
	v_fma_f64 v[107:108], v[132:133], 2.0, -v[74:75]
	v_lshlrev_b64 v[4:5], 4, v[10:11]
	v_mov_b32_e32 v6, v59
	v_add_co_u32_e32 v4, vcc, v96, v4
	v_addc_co_u32_e32 v5, vcc, v97, v5, vcc
	global_store_dwordx4 v[4:5], v[0:3], off
	v_add_u32_e32 v4, 0x360, v33
	v_mad_u64_u32 v[6:7], s[4:5], s3, v33, v[6:7]
	v_mad_u64_u32 v[2:3], s[4:5], s2, v4, 0
	v_mov_b32_e32 v59, v6
	v_add_u32_e32 v6, 0x6c0, v33
	v_mad_u64_u32 v[3:4], s[4:5], s3, v4, v[3:4]
	v_lshlrev_b64 v[0:1], 4, v[58:59]
	v_mad_u64_u32 v[4:5], s[4:5], s2, v6, 0
	v_add_co_u32_e32 v0, vcc, v96, v0
	v_addc_co_u32_e32 v1, vcc, v97, v1, vcc
	global_store_dwordx4 v[0:1], v[107:110], off
	v_lshlrev_b64 v[0:1], 4, v[2:3]
	v_mov_b32_e32 v2, v5
	v_mad_u64_u32 v[2:3], s[4:5], s3, v6, v[2:3]
	v_add_co_u32_e32 v0, vcc, v96, v0
	v_addc_co_u32_e32 v1, vcc, v97, v1, vcc
	v_mov_b32_e32 v5, v2
	global_store_dwordx4 v[0:1], v[68:71], off
	v_lshlrev_b64 v[0:1], 4, v[4:5]
	v_add_u32_e32 v4, 0xa20, v33
	v_add_u32_e32 v5, 0x1b0, v100
	v_mad_u64_u32 v[2:3], s[4:5], s2, v4, 0
	v_lshrrev_b32_e32 v6, 5, v5
	v_mul_hi_u32 v6, v6, s0
	v_mad_u64_u32 v[3:4], s[4:5], s3, v4, v[3:4]
	v_add_co_u32_e32 v0, vcc, v96, v0
	v_mul_u32_u24_e32 v4, 0x360, v6
	v_sub_u32_e32 v4, v5, v4
	v_mad_u32_u24 v6, v6, s1, v4
	v_mad_u64_u32 v[4:5], s[4:5], s2, v6, 0
	v_addc_co_u32_e32 v1, vcc, v97, v1, vcc
	global_store_dwordx4 v[0:1], v[74:77], off
	v_lshlrev_b64 v[0:1], 4, v[2:3]
	v_mov_b32_e32 v2, v5
	v_mad_u64_u32 v[2:3], s[4:5], s3, v6, v[2:3]
	v_add_co_u32_e32 v0, vcc, v96, v0
	v_addc_co_u32_e32 v1, vcc, v97, v1, vcc
	v_mov_b32_e32 v5, v2
	global_store_dwordx4 v[0:1], v[92:95], off
	v_lshlrev_b64 v[0:1], 4, v[4:5]
	v_add_u32_e32 v4, 0x360, v6
	v_mad_u64_u32 v[2:3], s[4:5], s2, v4, 0
	v_add_u32_e32 v7, 0x6c0, v6
	v_add_co_u32_e32 v0, vcc, v96, v0
	v_mad_u64_u32 v[3:4], s[4:5], s3, v4, v[3:4]
	v_mad_u64_u32 v[4:5], s[4:5], s2, v7, 0
	v_addc_co_u32_e32 v1, vcc, v97, v1, vcc
	global_store_dwordx4 v[0:1], v[62:65], off
	v_lshlrev_b64 v[0:1], 4, v[2:3]
	v_mov_b32_e32 v2, v5
	v_mad_u64_u32 v[2:3], s[4:5], s3, v7, v[2:3]
	v_add_co_u32_e32 v0, vcc, v96, v0
	v_addc_co_u32_e32 v1, vcc, v97, v1, vcc
	v_mov_b32_e32 v5, v2
	global_store_dwordx4 v[0:1], v[28:31], off
	v_lshlrev_b64 v[0:1], 4, v[4:5]
	v_add_u32_e32 v4, 0xa20, v6
	v_add_u32_e32 v5, 0x240, v100
	v_mad_u64_u32 v[2:3], s[4:5], s2, v4, 0
	v_lshrrev_b32_e32 v6, 5, v5
	v_mul_hi_u32 v6, v6, s0
	v_mad_u64_u32 v[3:4], s[4:5], s3, v4, v[3:4]
	v_add_co_u32_e32 v0, vcc, v96, v0
	v_mul_u32_u24_e32 v4, 0x360, v6
	v_sub_u32_e32 v4, v5, v4
	v_mad_u32_u24 v6, v6, s1, v4
	v_mad_u64_u32 v[4:5], s[4:5], s2, v6, 0
	v_addc_co_u32_e32 v1, vcc, v97, v1, vcc
	global_store_dwordx4 v[0:1], v[24:27], off
	v_lshlrev_b64 v[0:1], 4, v[2:3]
	v_mov_b32_e32 v2, v5
	v_mad_u64_u32 v[2:3], s[4:5], s3, v6, v[2:3]
	v_add_co_u32_e32 v0, vcc, v96, v0
	v_addc_co_u32_e32 v1, vcc, v97, v1, vcc
	v_mov_b32_e32 v5, v2
	global_store_dwordx4 v[0:1], v[54:57], off
	v_lshlrev_b64 v[0:1], 4, v[4:5]
	v_add_u32_e32 v4, 0x360, v6
	v_mad_u64_u32 v[2:3], s[4:5], s2, v4, 0
	v_add_u32_e32 v7, 0x6c0, v6
	v_add_co_u32_e32 v0, vcc, v96, v0
	v_mad_u64_u32 v[3:4], s[4:5], s3, v4, v[3:4]
	v_mad_u64_u32 v[4:5], s[4:5], s2, v7, 0
	v_addc_co_u32_e32 v1, vcc, v97, v1, vcc
	global_store_dwordx4 v[0:1], v[50:53], off
	v_lshlrev_b64 v[0:1], 4, v[2:3]
	v_mov_b32_e32 v2, v5
	v_mad_u64_u32 v[2:3], s[4:5], s3, v7, v[2:3]
	v_add_co_u32_e32 v0, vcc, v96, v0
	v_addc_co_u32_e32 v1, vcc, v97, v1, vcc
	v_mov_b32_e32 v5, v2
	global_store_dwordx4 v[0:1], v[46:49], off
	v_lshlrev_b64 v[0:1], 4, v[4:5]
	v_add_u32_e32 v4, 0xa20, v6
	v_mad_u64_u32 v[2:3], s[4:5], s2, v4, 0
	v_add_co_u32_e32 v0, vcc, v96, v0
	v_mad_u64_u32 v[3:4], s[4:5], s3, v4, v[3:4]
	v_add_u32_e32 v4, 0x2d0, v100
	v_lshrrev_b32_e32 v5, 5, v4
	v_mul_hi_u32 v5, v5, s0
	v_addc_co_u32_e32 v1, vcc, v97, v1, vcc
	global_store_dwordx4 v[0:1], v[42:45], off
	v_lshlrev_b64 v[0:1], 4, v[2:3]
	v_mul_u32_u24_e32 v2, 0x360, v5
	v_sub_u32_e32 v2, v4, v2
	v_mad_u32_u24 v6, v5, s1, v2
	v_mad_u64_u32 v[2:3], s[0:1], s2, v6, 0
	v_add_u32_e32 v7, 0x360, v6
	v_add_co_u32_e32 v0, vcc, v96, v0
	v_mad_u64_u32 v[3:4], s[0:1], s3, v6, v[3:4]
	v_mad_u64_u32 v[4:5], s[0:1], s2, v7, 0
	v_addc_co_u32_e32 v1, vcc, v97, v1, vcc
	global_store_dwordx4 v[0:1], v[38:41], off
	v_lshlrev_b64 v[0:1], 4, v[2:3]
	v_mov_b32_e32 v2, v5
	v_mad_u64_u32 v[2:3], s[0:1], s3, v7, v[2:3]
	v_add_co_u32_e32 v0, vcc, v96, v0
	v_addc_co_u32_e32 v1, vcc, v97, v1, vcc
	v_mov_b32_e32 v5, v2
	global_store_dwordx4 v[0:1], v[34:37], off
	v_lshlrev_b64 v[0:1], 4, v[4:5]
	v_add_u32_e32 v4, 0x6c0, v6
	v_mad_u64_u32 v[2:3], s[0:1], s2, v4, 0
	v_add_u32_e32 v6, 0xa20, v6
	v_add_co_u32_e32 v0, vcc, v96, v0
	v_mad_u64_u32 v[3:4], s[0:1], s3, v4, v[3:4]
	v_mad_u64_u32 v[4:5], s[0:1], s2, v6, 0
	v_addc_co_u32_e32 v1, vcc, v97, v1, vcc
	global_store_dwordx4 v[0:1], v[20:23], off
	v_lshlrev_b64 v[0:1], 4, v[2:3]
	v_mov_b32_e32 v2, v5
	v_mad_u64_u32 v[2:3], s[0:1], s3, v6, v[2:3]
	v_add_co_u32_e32 v0, vcc, v96, v0
	v_addc_co_u32_e32 v1, vcc, v97, v1, vcc
	v_mov_b32_e32 v5, v2
	global_store_dwordx4 v[0:1], v[16:19], off
	v_lshlrev_b64 v[0:1], 4, v[4:5]
	v_add_co_u32_e32 v0, vcc, v96, v0
	v_addc_co_u32_e32 v1, vcc, v97, v1, vcc
	global_store_dwordx4 v[0:1], v[12:15], off
.LBB0_15:
	s_endpgm
	.section	.rodata,"a",@progbits
	.p2align	6, 0x0
	.amdhsa_kernel fft_rtc_fwd_len3456_factors_6_6_6_4_4_wgs_144_tpt_144_halfLds_dp_op_CI_CI_sbrr_dirReg
		.amdhsa_group_segment_fixed_size 0
		.amdhsa_private_segment_fixed_size 0
		.amdhsa_kernarg_size 104
		.amdhsa_user_sgpr_count 6
		.amdhsa_user_sgpr_private_segment_buffer 1
		.amdhsa_user_sgpr_dispatch_ptr 0
		.amdhsa_user_sgpr_queue_ptr 0
		.amdhsa_user_sgpr_kernarg_segment_ptr 1
		.amdhsa_user_sgpr_dispatch_id 0
		.amdhsa_user_sgpr_flat_scratch_init 0
		.amdhsa_user_sgpr_private_segment_size 0
		.amdhsa_uses_dynamic_stack 0
		.amdhsa_system_sgpr_private_segment_wavefront_offset 0
		.amdhsa_system_sgpr_workgroup_id_x 1
		.amdhsa_system_sgpr_workgroup_id_y 0
		.amdhsa_system_sgpr_workgroup_id_z 0
		.amdhsa_system_sgpr_workgroup_info 0
		.amdhsa_system_vgpr_workitem_id 0
		.amdhsa_next_free_vgpr 182
		.amdhsa_next_free_sgpr 32
		.amdhsa_reserve_vcc 1
		.amdhsa_reserve_flat_scratch 0
		.amdhsa_float_round_mode_32 0
		.amdhsa_float_round_mode_16_64 0
		.amdhsa_float_denorm_mode_32 3
		.amdhsa_float_denorm_mode_16_64 3
		.amdhsa_dx10_clamp 1
		.amdhsa_ieee_mode 1
		.amdhsa_fp16_overflow 0
		.amdhsa_exception_fp_ieee_invalid_op 0
		.amdhsa_exception_fp_denorm_src 0
		.amdhsa_exception_fp_ieee_div_zero 0
		.amdhsa_exception_fp_ieee_overflow 0
		.amdhsa_exception_fp_ieee_underflow 0
		.amdhsa_exception_fp_ieee_inexact 0
		.amdhsa_exception_int_div_zero 0
	.end_amdhsa_kernel
	.text
.Lfunc_end0:
	.size	fft_rtc_fwd_len3456_factors_6_6_6_4_4_wgs_144_tpt_144_halfLds_dp_op_CI_CI_sbrr_dirReg, .Lfunc_end0-fft_rtc_fwd_len3456_factors_6_6_6_4_4_wgs_144_tpt_144_halfLds_dp_op_CI_CI_sbrr_dirReg
                                        ; -- End function
	.section	.AMDGPU.csdata,"",@progbits
; Kernel info:
; codeLenInByte = 17152
; NumSgprs: 36
; NumVgprs: 182
; ScratchSize: 0
; MemoryBound: 1
; FloatMode: 240
; IeeeMode: 1
; LDSByteSize: 0 bytes/workgroup (compile time only)
; SGPRBlocks: 4
; VGPRBlocks: 45
; NumSGPRsForWavesPerEU: 36
; NumVGPRsForWavesPerEU: 182
; Occupancy: 1
; WaveLimiterHint : 1
; COMPUTE_PGM_RSRC2:SCRATCH_EN: 0
; COMPUTE_PGM_RSRC2:USER_SGPR: 6
; COMPUTE_PGM_RSRC2:TRAP_HANDLER: 0
; COMPUTE_PGM_RSRC2:TGID_X_EN: 1
; COMPUTE_PGM_RSRC2:TGID_Y_EN: 0
; COMPUTE_PGM_RSRC2:TGID_Z_EN: 0
; COMPUTE_PGM_RSRC2:TIDIG_COMP_CNT: 0
	.type	__hip_cuid_585dfcc60275d845,@object ; @__hip_cuid_585dfcc60275d845
	.section	.bss,"aw",@nobits
	.globl	__hip_cuid_585dfcc60275d845
__hip_cuid_585dfcc60275d845:
	.byte	0                               ; 0x0
	.size	__hip_cuid_585dfcc60275d845, 1

	.ident	"AMD clang version 19.0.0git (https://github.com/RadeonOpenCompute/llvm-project roc-6.4.0 25133 c7fe45cf4b819c5991fe208aaa96edf142730f1d)"
	.section	".note.GNU-stack","",@progbits
	.addrsig
	.addrsig_sym __hip_cuid_585dfcc60275d845
	.amdgpu_metadata
---
amdhsa.kernels:
  - .args:
      - .actual_access:  read_only
        .address_space:  global
        .offset:         0
        .size:           8
        .value_kind:     global_buffer
      - .offset:         8
        .size:           8
        .value_kind:     by_value
      - .actual_access:  read_only
        .address_space:  global
        .offset:         16
        .size:           8
        .value_kind:     global_buffer
      - .actual_access:  read_only
        .address_space:  global
        .offset:         24
        .size:           8
        .value_kind:     global_buffer
      - .actual_access:  read_only
        .address_space:  global
        .offset:         32
        .size:           8
        .value_kind:     global_buffer
      - .offset:         40
        .size:           8
        .value_kind:     by_value
      - .actual_access:  read_only
        .address_space:  global
        .offset:         48
        .size:           8
        .value_kind:     global_buffer
      - .actual_access:  read_only
        .address_space:  global
        .offset:         56
        .size:           8
        .value_kind:     global_buffer
      - .offset:         64
        .size:           4
        .value_kind:     by_value
      - .actual_access:  read_only
        .address_space:  global
        .offset:         72
        .size:           8
        .value_kind:     global_buffer
      - .actual_access:  read_only
        .address_space:  global
        .offset:         80
        .size:           8
        .value_kind:     global_buffer
      - .actual_access:  read_only
        .address_space:  global
        .offset:         88
        .size:           8
        .value_kind:     global_buffer
      - .actual_access:  write_only
        .address_space:  global
        .offset:         96
        .size:           8
        .value_kind:     global_buffer
    .group_segment_fixed_size: 0
    .kernarg_segment_align: 8
    .kernarg_segment_size: 104
    .language:       OpenCL C
    .language_version:
      - 2
      - 0
    .max_flat_workgroup_size: 144
    .name:           fft_rtc_fwd_len3456_factors_6_6_6_4_4_wgs_144_tpt_144_halfLds_dp_op_CI_CI_sbrr_dirReg
    .private_segment_fixed_size: 0
    .sgpr_count:     36
    .sgpr_spill_count: 0
    .symbol:         fft_rtc_fwd_len3456_factors_6_6_6_4_4_wgs_144_tpt_144_halfLds_dp_op_CI_CI_sbrr_dirReg.kd
    .uniform_work_group_size: 1
    .uses_dynamic_stack: false
    .vgpr_count:     182
    .vgpr_spill_count: 0
    .wavefront_size: 64
amdhsa.target:   amdgcn-amd-amdhsa--gfx906
amdhsa.version:
  - 1
  - 2
...

	.end_amdgpu_metadata
